;; amdgpu-corpus repo=ROCm/hipBLASLt kind=harvested arch=n/a opt=n/a

/******************************************/
/* Begin Kernel                           */
/******************************************/
.amdgcn_target "amdgcn-amd-amdhsa--gfx942"
.text
.protected Custom_Cijk_Ailk_Bljk_F8NH_HHS_BH_Bias_GG_AS_SAB_SAV_UserArgs_shortname7_gfx942
.globl Custom_Cijk_Ailk_Bljk_F8NH_HHS_BH_Bias_GG_AS_SAB_SAV_UserArgs_shortname7_gfx942
.p2align 8
.type Custom_Cijk_Ailk_Bljk_F8NH_HHS_BH_Bias_GG_AS_SAB_SAV_UserArgs_shortname7_gfx942,@function
.section .rodata,#alloc
.p2align 6
.amdhsa_kernel Custom_Cijk_Ailk_Bljk_F8NH_HHS_BH_Bias_GG_AS_SAB_SAV_UserArgs_shortname7_gfx942
  .amdhsa_user_sgpr_kernarg_segment_ptr 1
  .amdhsa_accum_offset 256 // accvgpr offset
  .amdhsa_next_free_vgpr 512 // vgprs
  .amdhsa_next_free_sgpr 102 // sgprs
  .amdhsa_group_segment_fixed_size 65536 // lds bytes
  .amdhsa_private_segment_fixed_size 0
  .amdhsa_system_sgpr_workgroup_id_x 1
  .amdhsa_system_sgpr_workgroup_id_y 1
  .amdhsa_system_sgpr_workgroup_id_z 1
  .amdhsa_system_vgpr_workitem_id 0
  .amdhsa_float_denorm_mode_32 3
  .amdhsa_float_denorm_mode_16_64 3
  .amdhsa_user_sgpr_count 13
  .amdhsa_user_sgpr_kernarg_preload_length 11
  .amdhsa_user_sgpr_kernarg_preload_offset 0
.end_amdhsa_kernel
.text
/* Num VGPR   =256 */
/* Num AccVGPR=224 */
/* Num SGPR   =90 */

/******************************************/
/* Optimizations and Config:              */
/******************************************/
/* ThreadTile= 16 x 14 */
/* SubGroup= 16 x 16 */
/* VectorWidthA=4 */
/* VectorWidthB=1 */
/* GlobalReadVectorWidthA=4, GlobalReadVectorWidthB=8 */
/* DirectToLdsA=False */
/* DirectToLdsB=False */
/* UseSgprForGRO=1 */
.amdgpu_metadata
---
custom.config:
   ProblemType:
      OperationType: GEMM
      DataTypeA: f8n
      DataTypeB: h
      UseScaleAB: "Scalar"
      DataType: h
      DestDataType: h
      ComputeDataType: s
      HighPrecisionAccumulate: True
      TransposeA: False
      TransposeB: False
      UseBias: 1
      Activation: True
      UseScaleAlphaVec: 1
      UseBeta: True
      Batched: True
      GroupedGemm:   True
      SupportUserArgs: True
   EnableF32XdlMathOp: False
   EnableMatrixInstruction: True
   MFMA_BF16_1K: False
   MIBlock: [16, 16, 16, 1, 1, 1]
   MIInputPerThread: 4
   MIInputPerThreadA: 4
   MIInputPerThreadB: 4
   MIInputPerThreadMetadata: 4
   MIWaveGroup: [4, 1]
   MIWaveTile: [4, 14]
   MatrixInstB: 1
   MatrixInstBM: 1
   MatrixInstBN: 1
   MatrixInstK: 16
   MatrixInstM: 16
   MatrixInstN: 16
   MatrixInstruction: [16, 16, 16, 1]
   Sparse: 0
   ThreadTile: [1, 1]
   WavefrontSize: 64
   WorkGroup: [64, 4, 1]
   1LDSBuffer: 1
   ScheduleIterAlg: 3
   DepthU: 64
   StaggerU: 0
   WorkGroupMapping: 8
   WaveSeparateGlobalReadA: 1
   WaveSeparateGlobalReadB: 1
   GlobalReadVectorWidthA: 4
   GlobalReadVectorWidthB: 8
   AssertFree0ElementMultiple: 4
   AssertSummationElementMultiple: 128
   NoReject: 1
   InternalSupportParams:
      KernArgsVersion: 0
      SupportUserGSU: False
      SupportCustomWGM: False
      SupportCustomStaggerU: False
      UseUniversalArgs: False
amdhsa.version:
  - 1
  - 1
amdhsa.kernels:
  - .name: Custom_Cijk_Ailk_Bljk_F8NH_HHS_BH_Bias_GG_AS_SAB_SAV_UserArgs_shortname7_gfx942
    .symbol: 'Custom_Cijk_Ailk_Bljk_F8NH_HHS_BH_Bias_GG_AS_SAB_SAV_UserArgs_shortname7_gfx942.kd'
    .language:                   OpenCL C
    .language_version:
      - 2
      - 0
    .args:
      - .name:            SizesFree0
        .size:            4
        .offset:          0
        .value_kind:      by_value
        .value_type:      u32
      - .name:            SizesFree1
        .size:            4
        .offset:          4
        .value_kind:      by_value
        .value_type:      u32
      - .name:            SizesFree2
        .size:            4
        .offset:          8
        .value_kind:      by_value
        .value_type:      u32
      - .name:            SizesSum0
        .size:            4
        .offset:          12
        .value_kind:      by_value
        .value_type:      u32
      - .name:            D
        .size:            8
        .offset:          16
        .value_kind:      global_buffer
        .value_type:      f16
        .address_space:   generic
      - .name:            C
        .size:            8
        .offset:          24
        .value_kind:      global_buffer
        .value_type:      f16
        .address_space:   generic
      - .name:            A
        .size:            8
        .offset:          32
        .value_kind:      global_buffer
        .value_type:      f16
        .address_space:   generic
      - .name:            B
        .size:            8
        .offset:          40
        .value_kind:      global_buffer
        .value_type:      f16
        .address_space:   generic
      - .name:            strideD0
        .size:            4
        .offset:          48
        .value_kind:      by_value
        .value_type:      u32
      - .name:            strideD1
        .size:            4
        .offset:          52
        .value_kind:      by_value
        .value_type:      u32
      - .name:            strideC0
        .size:            4
        .offset:          56
        .value_kind:      by_value
        .value_type:      u32
      - .name:            strideC1
        .size:            4
        .offset:          60
        .value_kind:      by_value
        .value_type:      u32
      - .name:            strideA0
        .size:            4
        .offset:          64
        .value_kind:      by_value
        .value_type:      u32
      - .name:            strideA1
        .size:            4
        .offset:          68
        .value_kind:      by_value
        .value_type:      u32
      - .name:            strideB0
        .size:            4
        .offset:          72
        .value_kind:      by_value
        .value_type:      u32
      - .name:            strideB1
        .size:            4
        .offset:          76
        .value_kind:      by_value
        .value_type:      u32
      - .name:            alpha
        .size:            4
        .offset:          80
        .value_kind:      by_value
        .value_type:      f32
      - .name:            beta
        .size:            4
        .offset:          84
        .value_kind:      by_value
        .value_type:      f32
      - .name:            AddressScaleA
        .size:            8
        .offset:          88
        .value_kind:      global_buffer
        .value_type:      f32
        .address_space:   generic
      - .name:            AddressScaleB
        .size:            8
        .offset:          96
        .value_kind:      global_buffer
        .value_type:      f32
        .address_space:   generic
      - .name:            AddressScaleAlphaVec
        .size:            8
        .offset:          104
        .value_kind:      global_buffer
        .value_type:      f32
        .address_space:   generic
      - .name:            bias
        .size:            8
        .offset:          112
        .value_kind:      global_buffer
        .value_type:      void
        .address_space:   generic
      - .name:            biasType
        .size:            4
        .offset:          120
        .value_kind:      by_value
        .value_type:      u32
      - .name:            StrideBias
        .size:            4
        .offset:          124
        .value_kind:      by_value
        .value_type:      u32
      - .name:            activationAlpha
        .size:            4
        .offset:          128
        .value_kind:      by_value
        .value_type:      f32
      - .name:            activationBeta
        .size:            4
        .offset:          132
        .value_kind:      by_value
        .value_type:      f32
      - .name:            activationType
        .size:            4
        .offset:          136
        .value_kind:      by_value
        .value_type:      u32
    .group_segment_fixed_size:   35840
    .kernarg_segment_align:      8
    .kernarg_segment_size:       144
    .max_flat_workgroup_size:    256
    .private_segment_fixed_size: 0
    .sgpr_count:                 90
    .sgpr_spill_count:           0
    .vgpr_count:                 256
    .vgpr_spill_count:           0
    .wavefront_size:             64
...
.end_amdgpu_metadata
Custom_Cijk_Ailk_Bljk_F8NH_HHS_BH_Bias_GG_AS_SAB_SAV_UserArgs_shortname7_gfx942:
.long 0xC00206C0, 0x00000000
.long 0xC0020B80, 0x00000018
.long 0xC0060180, 0x00000004
.long 0xC0060000, 0x0000000C
.long 0xBF8CC07F
.long 0xBF82003D
	;; [unrolled: 1-line block ×63, first 2 shown]
.long 0xBEBC00FF, 0x05040100
.long 0xBEBD00FF, 0x07060302
	;; [unrolled: 1-line block ×3, first 2 shown]
.long 0x7FF40300
.long 0xBE82000D
	;; [unrolled: 1-line block ×6, first 2 shown]
.long 0xBE9A00FF, 0x0000008C
.long 0x9216841B
.long 0xBE900100
.long 0xBF820004
.long 0xBE9A00FF, 0x000000C4
.long 0xBE960080
.long 0xBE900106
.long 0xBE980081
.long 0xBE970080
.long 0xC0080308, 0x00000016
.long 0xB41B0001
	;; [unrolled: 5-line block ×3, first 2 shown]
.long 0xBE930080
.long 0x92120DFF, 0x00000249
.long 0x8E929012
.long 0x9215FF0D, 0x00002493
.long 0x80121215
.long 0x82138013
	;; [unrolled: 1-line block ×3, first 2 shown]
.long 0x9213FF12, 0x000000E0
.long 0xBF070D13
.long 0x82158012
	;; [unrolled: 1-line block ×9, first 2 shown]
.long 0xC0080308, 0x00000016
.long 0x80188118
.long 0xBF0A1B18
	;; [unrolled: 1-line block ×5, first 2 shown]
.long 0x86120CFF, 0x000000FF
.long 0x82148014
.long 0xBE930080
.long 0x92120DFF, 0x00000249
.long 0x8E929012
.long 0x9215FF0D, 0x00002493
.long 0x80121215
.long 0x82138013
	;; [unrolled: 1-line block ×3, first 2 shown]
.long 0x9213FF12, 0x000000E0
.long 0xBF070D13
.long 0x82158012
.long 0x92141514
.long 0x92140E14
.long 0x92142E14
.long 0x80171417
.long 0x808B8118
.long 0x80881417
.long 0x80820802
.long 0xBF128006
.long 0xBF84000D
.long 0x9780001B
.long 0x82018001
.long 0x920BFF0B, 0x0000008C
.long 0x80000B00
.long 0x82018001
.long 0xC0120600, 0x00000000
.long 0xC00A0A00, 0x00000040
	;; [unrolled: 1-line block ×3, first 2 shown]
.long 0xBF82000C
.long 0x920BFF0B, 0x000000C4
.long 0x80060B06
.long 0x82078007
.long 0xC0120603, 0x00000000
.long 0xC00A0A03, 0x00000040
	;; [unrolled: 1-line block ×4, first 2 shown]
.long 0x2603F4BF
.long 0x2600028F
	;; [unrolled: 1-line block ×27, first 2 shown]
.long 0xBE8F00FF, 0x000000E0
.long 0xD2850000, 0x0002000F
	;; [unrolled: 1-line block ×3, first 2 shown]
.long 0x20051687
.long 0x24040485
	;; [unrolled: 1-line block ×22, first 2 shown]
.long 0xD1FE0088, 0x02071105
.long 0x200D1087
.long 0x240C0C85
	;; [unrolled: 1-line block ×4, first 2 shown]
.long 0x7E1002FF, 0x00000100
.long 0x7E0E0218
.long 0x7E0C0D08
	;; [unrolled: 1-line block ×8, first 2 shown]
.long 0xD0CD006A, 0x00010109
.long 0xD11C6A06, 0x01A90106
	;; [unrolled: 1-line block ×3, first 2 shown]
.long 0x7E0E0219
.long 0x7E1A0506
	;; [unrolled: 1-line block ×9, first 2 shown]
.long 0xD0CD006A, 0x00010109
.long 0xD11C6A06, 0x01A90106
.long 0xBF800000
.long 0x7E1C0506
	;; [unrolled: 1-line block ×12, first 2 shown]
.long 0xD1080007, 0x0000A906
.long 0x6A0E0E02
.long 0xD0DA007E, 0x0000A907
.long 0x680C0C81
.long 0xBEFE01C1
	;; [unrolled: 1-line block ×13, first 2 shown]
.long 0xD1080007, 0x00001B06
.long 0x6A0E0E02
.long 0xD0DA007E, 0x00001B07
.long 0x680C0C81
.long 0xBEFE01C1
	;; [unrolled: 1-line block ×13, first 2 shown]
.long 0xD042006A, 0x0001002C
.long 0xBF860001
.long 0xBE9B0080
.long 0xBF06812E
.long 0xBF850012
.long 0x7E0C0C2E
.long 0x7E0C4706
.long 0x7E0E0C03
.long 0x0A0C0F06
.long 0x7E0C0F06
.long 0xD1080007, 0x00005D06
.long 0x6A0E0E03
.long 0xD0DA007E, 0x00005D07
.long 0x680C0C81
.long 0x7E0E0280
	;; [unrolled: 1-line block ×11, first 2 shown]
.long 0xBED800FF, 0x10000001
.long 0x96555803
.long 0x92545803
	;; [unrolled: 1-line block ×21, first 2 shown]
.long 0xD1080007, 0x0000AD06
.long 0x6A0E0E55
.long 0xD0DA007E, 0x0000AD07
.long 0x680C0C81
.long 0x7E0E0280
	;; [unrolled: 1-line block ×16, first 2 shown]
.long 0xD2850001, 0x00020288
.long 0xD2850001, 0x00020228
.long 0x68000101
.long 0x2003F486
	;; [unrolled: 1-line block ×4, first 2 shown]
.long 0xD1FE0089, 0x02020101
.long 0x69131284
.long 0x923E8128
.long 0x923F8228
.long 0x92408328
.long 0x92418428
.long 0x92428528
.long 0x92438628
.long 0x92448728
.long 0x9245A028
.long 0x9246A128
.long 0x9247A228
.long 0x9248A328
.long 0x9249A428
.long 0x924AA528
.long 0x924BA628
.long 0x924CA728
.long 0xD2850006, 0x0002042A
.long 0x33140D03
.long 0x69151488
	;; [unrolled: 1-line block ×15, first 2 shown]
.long 0x9657FF02, 0x00000100
.long 0x9256FF02, 0x00000100
.long 0x965508C0
.long 0x925408C0
	;; [unrolled: 1-line block ×30, first 2 shown]
.long 0xBEB300FF, 0x00020000
.long 0x9657FF03, 0x000000E0
	;; [unrolled: 1-line block ×3, first 2 shown]
.long 0x96572A56
.long 0x92562A56
	;; [unrolled: 1-line block ×32, first 2 shown]
.long 0xBEB700FF, 0x00020000
.long 0x9253C02E
.long 0x920F2853
.long 0x9253FF2E, 0x00000080
.long 0xBEAF0053
.long 0x8F0B861B
	;; [unrolled: 1-line block ×9, first 2 shown]
.long 0xD1080001, 0x00005D00
.long 0x6A02020B
.long 0xD0DA007E, 0x00005D01
.long 0x68000081
.long 0x7E020280
	;; [unrolled: 1-line block ×11, first 2 shown]
.long 0xE0501000, 0x800C8C89
.long 0xE0501000, 0x3E0C9089
	;; [unrolled: 1-line block ×23, first 2 shown]
.long 0x80300F30
.long 0x82318031
	;; [unrolled: 1-line block ×14, first 2 shown]
.long 0xBE9200FF, 0x80000000
.long 0xBE9300FF, 0x00020000
.long 0xBE94001E
.long 0xBE95001F
.long 0xBE9600FF, 0x80000000
.long 0xBE9700FF, 0x00020000
.long 0x925603FF, 0x000000E0
.long 0x96552656
.long 0x92542656
	;; [unrolled: 1-line block ×39, first 2 shown]
.long 0xD3D94000, 0x18000080
.long 0xD3D94001, 0x18000080
.long 0xD3D94002, 0x18000080
.long 0xD3D94003, 0x18000080
.long 0xD3D94004, 0x18000080
.long 0xD3D94005, 0x18000080
.long 0xD3D94006, 0x18000080
.long 0xD3D94007, 0x18000080
.long 0xD3D94008, 0x18000080
.long 0xD3D94009, 0x18000080
.long 0xD3D9400A, 0x18000080
.long 0xD3D9400B, 0x18000080
.long 0xD3D9400C, 0x18000080
.long 0xD3D9400D, 0x18000080
.long 0xD3D9400E, 0x18000080
.long 0xD3D9400F, 0x18000080
.long 0xD3D94010, 0x18000080
.long 0xD3D94011, 0x18000080
.long 0xD3D94012, 0x18000080
.long 0xD3D94013, 0x18000080
.long 0xD3D94014, 0x18000080
.long 0xD3D94015, 0x18000080
.long 0xD3D94016, 0x18000080
.long 0xD3D94017, 0x18000080
.long 0xD3D94018, 0x18000080
.long 0xD3D94019, 0x18000080
.long 0xD3D9401A, 0x18000080
.long 0xD3D9401B, 0x18000080
.long 0xD3D9401C, 0x18000080
.long 0xD3D9401D, 0x18000080
.long 0xD3D9401E, 0x18000080
.long 0xD3D9401F, 0x18000080
.long 0xD3D94020, 0x18000080
.long 0xD3D94021, 0x18000080
.long 0xD3D94022, 0x18000080
.long 0xD3D94023, 0x18000080
.long 0xD3D94024, 0x18000080
.long 0xD3D94025, 0x18000080
.long 0xD3D94026, 0x18000080
.long 0xD3D94027, 0x18000080
.long 0xD3D94028, 0x18000080
.long 0xD3D94029, 0x18000080
.long 0xD3D9402A, 0x18000080
.long 0xD3D9402B, 0x18000080
.long 0xD3D9402C, 0x18000080
.long 0xD3D9402D, 0x18000080
.long 0xD3D9402E, 0x18000080
.long 0xD3D9402F, 0x18000080
.long 0xD3D94030, 0x18000080
.long 0xD3D94031, 0x18000080
.long 0xD3D94032, 0x18000080
.long 0xD3D94033, 0x18000080
.long 0xD3D94034, 0x18000080
.long 0xD3D94035, 0x18000080
.long 0xD3D94036, 0x18000080
.long 0xD3D94037, 0x18000080
.long 0xD3D94038, 0x18000080
.long 0xD3D94039, 0x18000080
.long 0xD3D9403A, 0x18000080
.long 0xD3D9403B, 0x18000080
.long 0xD3D9403C, 0x18000080
.long 0xD3D9403D, 0x18000080
.long 0xD3D9403E, 0x18000080
.long 0xD3D9403F, 0x18000080
.long 0xD3D94040, 0x18000080
.long 0xD3D94041, 0x18000080
.long 0xD3D94042, 0x18000080
.long 0xD3D94043, 0x18000080
.long 0xD3D94044, 0x18000080
.long 0xD3D94045, 0x18000080
.long 0xD3D94046, 0x18000080
.long 0xD3D94047, 0x18000080
.long 0xD3D94048, 0x18000080
.long 0xD3D94049, 0x18000080
.long 0xD3D9404A, 0x18000080
.long 0xD3D9404B, 0x18000080
.long 0xD3D9404C, 0x18000080
.long 0xD3D9404D, 0x18000080
.long 0xD3D9404E, 0x18000080
.long 0xD3D9404F, 0x18000080
.long 0xD3D94050, 0x18000080
.long 0xD3D94051, 0x18000080
.long 0xD3D94052, 0x18000080
.long 0xD3D94053, 0x18000080
.long 0xD3D94054, 0x18000080
.long 0xD3D94055, 0x18000080
.long 0xD3D94056, 0x18000080
.long 0xD3D94057, 0x18000080
.long 0xD3D94058, 0x18000080
.long 0xD3D94059, 0x18000080
.long 0xD3D9405A, 0x18000080
.long 0xD3D9405B, 0x18000080
.long 0xD3D9405C, 0x18000080
.long 0xD3D9405D, 0x18000080
.long 0xD3D9405E, 0x18000080
.long 0xD3D9405F, 0x18000080
.long 0xD3D94060, 0x18000080
.long 0xD3D94061, 0x18000080
.long 0xD3D94062, 0x18000080
.long 0xD3D94063, 0x18000080
.long 0xD3D94064, 0x18000080
.long 0xD3D94065, 0x18000080
.long 0xD3D94066, 0x18000080
.long 0xD3D94067, 0x18000080
.long 0xD3D94068, 0x18000080
.long 0xD3D94069, 0x18000080
.long 0xD3D9406A, 0x18000080
.long 0xD3D9406B, 0x18000080
.long 0xD3D9406C, 0x18000080
.long 0xD3D9406D, 0x18000080
.long 0xD3D9406E, 0x18000080
.long 0xD3D9406F, 0x18000080
.long 0xD3D94070, 0x18000080
.long 0xD3D94071, 0x18000080
.long 0xD3D94072, 0x18000080
.long 0xD3D94073, 0x18000080
.long 0xD3D94074, 0x18000080
.long 0xD3D94075, 0x18000080
.long 0xD3D94076, 0x18000080
.long 0xD3D94077, 0x18000080
.long 0xD3D94078, 0x18000080
.long 0xD3D94079, 0x18000080
.long 0xD3D9407A, 0x18000080
.long 0xD3D9407B, 0x18000080
.long 0xD3D9407C, 0x18000080
.long 0xD3D9407D, 0x18000080
.long 0xD3D9407E, 0x18000080
.long 0xD3D9407F, 0x18000080
.long 0xD3D94080, 0x18000080
.long 0xD3D94081, 0x18000080
.long 0xD3D94082, 0x18000080
.long 0xD3D94083, 0x18000080
.long 0xD3D94084, 0x18000080
.long 0xD3D94085, 0x18000080
.long 0xD3D94086, 0x18000080
.long 0xD3D94087, 0x18000080
.long 0xD3D94088, 0x18000080
.long 0xD3D94089, 0x18000080
.long 0xD3D9408A, 0x18000080
.long 0xD3D9408B, 0x18000080
.long 0xD3D9408C, 0x18000080
.long 0xD3D9408D, 0x18000080
.long 0xD3D9408E, 0x18000080
.long 0xD3D9408F, 0x18000080
.long 0xD3D94090, 0x18000080
.long 0xD3D94091, 0x18000080
.long 0xD3D94092, 0x18000080
.long 0xD3D94093, 0x18000080
.long 0xD3D94094, 0x18000080
.long 0xD3D94095, 0x18000080
.long 0xD3D94096, 0x18000080
.long 0xD3D94097, 0x18000080
.long 0xD3D94098, 0x18000080
.long 0xD3D94099, 0x18000080
.long 0xD3D9409A, 0x18000080
.long 0xD3D9409B, 0x18000080
.long 0xD3D9409C, 0x18000080
.long 0xD3D9409D, 0x18000080
.long 0xD3D9409E, 0x18000080
.long 0xD3D9409F, 0x18000080
.long 0xD3D940A0, 0x18000080
.long 0xD3D940A1, 0x18000080
.long 0xD3D940A2, 0x18000080
.long 0xD3D940A3, 0x18000080
.long 0xD3D940A4, 0x18000080
.long 0xD3D940A5, 0x18000080
.long 0xD3D940A6, 0x18000080
.long 0xD3D940A7, 0x18000080
.long 0xD3D940A8, 0x18000080
.long 0xD3D940A9, 0x18000080
.long 0xD3D940AA, 0x18000080
.long 0xD3D940AB, 0x18000080
.long 0xD3D940AC, 0x18000080
.long 0xD3D940AD, 0x18000080
.long 0xD3D940AE, 0x18000080
.long 0xD3D940AF, 0x18000080
.long 0xD3D940B0, 0x18000080
.long 0xD3D940B1, 0x18000080
.long 0xD3D940B2, 0x18000080
.long 0xD3D940B3, 0x18000080
.long 0xD3D940B4, 0x18000080
.long 0xD3D940B5, 0x18000080
.long 0xD3D940B6, 0x18000080
.long 0xD3D940B7, 0x18000080
.long 0xD3D940B8, 0x18000080
.long 0xD3D940B9, 0x18000080
.long 0xD3D940BA, 0x18000080
.long 0xD3D940BB, 0x18000080
.long 0xD3D940BC, 0x18000080
.long 0xD3D940BD, 0x18000080
.long 0xD3D940BE, 0x18000080
.long 0xD3D940BF, 0x18000080
.long 0xD3D940C0, 0x18000080
.long 0xD3D940C1, 0x18000080
.long 0xD3D940C2, 0x18000080
.long 0xD3D940C3, 0x18000080
.long 0xD3D940C4, 0x18000080
.long 0xD3D940C5, 0x18000080
.long 0xD3D940C6, 0x18000080
.long 0xD3D940C7, 0x18000080
.long 0xD3D940C8, 0x18000080
.long 0xD3D940C9, 0x18000080
.long 0xD3D940CA, 0x18000080
.long 0xD3D940CB, 0x18000080
.long 0xD3D940CC, 0x18000080
.long 0xD3D940CD, 0x18000080
.long 0xD3D940CE, 0x18000080
.long 0xD3D940CF, 0x18000080
.long 0xD3D940D0, 0x18000080
.long 0xD3D940D1, 0x18000080
.long 0xD3D940D2, 0x18000080
.long 0xD3D940D3, 0x18000080
.long 0xD3D940D4, 0x18000080
.long 0xD3D940D5, 0x18000080
.long 0xD3D940D6, 0x18000080
.long 0xD3D940D7, 0x18000080
.long 0xD3D940D8, 0x18000080
.long 0xD3D940D9, 0x18000080
.long 0xD3D940DA, 0x18000080
.long 0xD3D940DB, 0x18000080
.long 0xD3D940DC, 0x18000080
.long 0xD3D940DD, 0x18000080
.long 0xD3D940DE, 0x18000080
.long 0xD3D940DF, 0x18000080
.long 0xBF06800B
.long 0xBF840006
	;; [unrolled: 1-line block ×3, first 2 shown]
.long 0x815684FF, 0x000031F0
.long 0x80545654
.long 0x82558055
	;; [unrolled: 1-line block ×20, first 2 shown]
.long 0xD9BE0000, 0x0000CC88
.long 0xD9BE0500, 0x0000D088
	;; [unrolled: 1-line block ×7, first 2 shown]
.long 0xBF06810B
.long 0xBF85002E
.long 0xE05C1000, 0x800D8C8A
.long 0xE05C1000, 0x4D0D908A
	;; [unrolled: 1-line block ×23, first 2 shown]
.long 0xBF8CC07F
.long 0xBF8A0000
.long 0x7FF0ACF9, 0x000406E8
.long 0x7E0014F9, 0x000614F8
	;; [unrolled: 1-line block ×38, first 2 shown]
.long 0xBF06810B
.long 0xBF850965
.long 0xBF0B820B
.long 0xBF850662
.long 0xBF8CC07F
.long 0xD3CD8000, 0x04020118
.long 0xD9FE0040, 0x5000008B
.long 0x80300F30
.long 0xD3CD8004, 0x04120518
.long 0xD9FE0A40, 0x5400008B
.long 0x82318031
	;; [unrolled: 3-line block ×12, first 2 shown]
.long 0xD3CD8030, 0x04C20124
.long 0xD9FE7840, 0x8000008B
	;; [unrolled: 1-line block ×25, first 2 shown]
.long 0xBF8CC07F
.long 0xBF8A0000
.long 0xD3CD808C, 0x06320D38
.long 0xBF8C4F76
.long 0xD9BE0000, 0x00008C88
.long 0xD3CD8090, 0x0642013C
	;; [unrolled: 1-line block ×9, first 2 shown]
.long 0xBF8C4F76
.long 0xD9BE0500, 0x00009088
.long 0xD3CD80AC, 0x06B20D40
	;; [unrolled: 1-line block ×21, first 2 shown]
.long 0xBF8C4F76
.long 0xD9BE0A00, 0x00009488
.long 0xD3CD80C8, 0x07220948
.long 0xE0501000, 0x3F0C9489
.long 0xD3CD80CC, 0x07320D48
.long 0x7FF0ACF9, 0x000406EE
.long 0x7E1214F9, 0x000614F8
.long 0x7E1614F9, 0x000614F9
.long 0xD3CD80D0, 0x0742014C
.long 0x7FF0ACF9, 0x000506EE
.long 0x7E1A14F9, 0x000614F8
.long 0x7E1E14F9, 0x000614F9
.long 0xD3CD80D4, 0x0752054C
.long 0x7FF0ACF9, 0x000406EF
.long 0x7E1214F9, 0x000615F8
.long 0x7E1614F9, 0x000615F9
.long 0xD3CD80D8, 0x0762094C
.long 0x7FF0ACF9, 0x000506EF
.long 0x7E1A14F9, 0x000615F8
.long 0x7E1E14F9, 0x000615F9
.long 0xD3CD80DC, 0x07720D4C
.long 0xBF8CCB7F
.long 0xD3CD8000, 0x0402111A
.long 0xBF8C4F76
.long 0xD9BE0F00, 0x00009888
.long 0xD3CD8004, 0x0412151A
	;; [unrolled: 1-line block ×27, first 2 shown]
.long 0xBF8C4F76
.long 0xD9BE1400, 0x00009C88
.long 0xD3CD8020, 0x04821122
	;; [unrolled: 1-line block ×24, first 2 shown]
.long 0xBF8C4F76
.long 0xD9BE1900, 0x0000A088
.long 0xD3CD803C, 0x04F21D26
.long 0xE0501000, 0x420CA089
.long 0xD3CD8040, 0x0502112A
.long 0x7FF0ACF9, 0x000506F5
.long 0x7E2814F9, 0x000615F8
.long 0x7E2C14F9, 0x000615F9
.long 0xD3CD8044, 0x0512152A
.long 0x7FF0ACF9, 0x000406F6
.long 0x7E2214F9, 0x000614F8
.long 0x7E2614F9, 0x000614F9
.long 0xD3CD8048, 0x0522192A
.long 0x7FF0ACF9, 0x000506F6
.long 0x7E2A14F9, 0x000614F8
.long 0x7E2E14F9, 0x000614F9
.long 0xD3CD804C, 0x05321D2A
.long 0x7FF0ACF9, 0x000406F7
.long 0x7E2214F9, 0x000615F8
.long 0x7E2614F9, 0x000615F9
.long 0xD3CD8050, 0x0542112E
.long 0x7FF0ACF9, 0x000506F7
.long 0x7E2A14F9, 0x000615F8
.long 0x7E2E14F9, 0x000615F9
.long 0xD3CD8054, 0x0552152E
.long 0xBF8C4F76
.long 0xD9BE1E00, 0x0000A488
.long 0xD3CD8058, 0x0562192E
	;; [unrolled: 1-line block ×10, first 2 shown]
.long 0xBF8C4F76
.long 0x7FD003A8
.long 0xD3CD8078, 0x05E21936
.long 0xE0501000, 0x440CA889
.long 0xD3CD807C, 0x05F21D36
.long 0xD3CD8080, 0x0602113A
.long 0xD3CD8084, 0x0612153A
.long 0xD3CD8088, 0x0622193A
.long 0xD3CD808C, 0x06321D3A
.long 0xD3CD8090, 0x0642113E
.long 0xBF8C4F76
.long 0x7FD203AC
.long 0xD3CD8094, 0x0652153E
.long 0xE0501000, 0x450CAC89
.long 0xD3CD8098, 0x0662193E
.long 0xD3CD809C, 0x06721D3E
.long 0xD3CD80A0, 0x06821142
.long 0xD3CD80A4, 0x06921542
.long 0xD3CD80A8, 0x06A21942
.long 0xD3CD80AC, 0x06B21D42
	;; [unrolled: 10-line block ×3, first 2 shown]
.long 0xBF8C4F76
.long 0x7FD603B4
.long 0xD3CD80CC, 0x07321D4A
.long 0xE0501000, 0x470CB489
	;; [unrolled: 1-line block ×6, first 2 shown]
.long 0xBF8CC87F
.long 0xD3CD8000, 0x04020150
.long 0xD3CD8004, 0x04120550
.long 0xBF8C4F76
.long 0x7FD803B8
.long 0xD3CD8008, 0x04220950
.long 0xE0501000, 0x480CB889
.long 0xD3CD800C, 0x04320D50
.long 0xD3CD8010, 0x04420154
.long 0xD3CD8014, 0x04520554
.long 0xD3CD8018, 0x04620954
.long 0xD3CD801C, 0x04720D54
.long 0xD3CD8020, 0x04820158
.long 0xBF8C4F76
.long 0x7FDA03BC
.long 0xD3CD8024, 0x04920558
.long 0xE0501000, 0x490CBC89
.long 0xD3CD8028, 0x04A20958
.long 0xD3CD802C, 0x04B20D58
.long 0xD3CD8030, 0x04C2015C
.long 0xD3CD8034, 0x04D2055C
	;; [unrolled: 10-line block ×3, first 2 shown]
.long 0xD3CD8054, 0x05520564
.long 0xD3CD8058, 0x05620964
.long 0xD3CD805C, 0x05720D64
.long 0xBF8C4F76
.long 0x7FDE03C4
.long 0xD3CD8060, 0x05820168
.long 0xE0501000, 0x4B0CC489
.long 0xD3CD8064, 0x05920568
.long 0xD3CD8068, 0x05A20968
.long 0xD3CD806C, 0x05B20D68
.long 0xD3CD8070, 0x05C2016C
.long 0xD3CD8074, 0x05D2056C
.long 0xD3CD8078, 0x05E2096C
.long 0xBF8C4F76
.long 0x7FE003C8
.long 0xD3CD807C, 0x05F20D6C
.long 0xE0501000, 0x4C0CC889
.long 0xD3CD8080, 0x06020170
.long 0xD3CD8084, 0x06120570
.long 0xD3CD8088, 0x06220970
	;; [unrolled: 10-line block ×5, first 2 shown]
.long 0xBF8CC87F
.long 0xD3CD8000, 0x04022152
.long 0xD3CD8004, 0x04122552
	;; [unrolled: 1-line block ×3, first 2 shown]
.long 0xBF8C4F76
.long 0x7FE803D8
.long 0xD3CD800C, 0x04322D52
.long 0xE05C1000, 0x4F0DD88A
	;; [unrolled: 1-line block ×8, first 2 shown]
.long 0xBF8C4F76
.long 0x7FEA03DC
.long 0xD3CD8028, 0x04A2295A
.long 0xE05C1000, 0x500DDC8A
	;; [unrolled: 1-line block ×9, first 2 shown]
.long 0xBF8C4F76
.long 0x7FEC03E0
.long 0xD3CD8048, 0x05222962
.long 0xE05C1000, 0x510DE08A
	;; [unrolled: 1-line block ×8, first 2 shown]
.long 0xBF8C4F76
.long 0x7FEE03E4
.long 0xD3CD8064, 0x0592256A
.long 0xE05C1000, 0x520DE48A
.long 0xD3CD8068, 0x05A2296A
.long 0xD3CD806C, 0x05B22D6A
.long 0xBF8CC07F
.long 0xBF8A0000
.long 0xD3CD8070, 0x05C2216E
.long 0xD9FE0000, 0x1800008B
	;; [unrolled: 1-line block ×66, first 2 shown]
.long 0x808B810B
.long 0xBF8CC07F
.long 0xD3CD8000, 0x04020118
.long 0xD9FE0040, 0x5000008B
.long 0x80300F30
.long 0xD3CD8004, 0x04120518
.long 0xD9FE0A40, 0x5400008B
	;; [unrolled: 3-line block ×13, first 2 shown]
.long 0xD3CD8034, 0x04D20524
.long 0xD9FE8240, 0x8400008B
	;; [unrolled: 1-line block ×23, first 2 shown]
.long 0xBF8CC07F
.long 0xBF8A0000
.long 0xD3CD808C, 0x06320D38
.long 0xBF8C4F76
.long 0x7FD0038C
.long 0xD3CD8090, 0x0642013C
.long 0xE05C1000, 0x800D8C8A
	;; [unrolled: 1-line block ×8, first 2 shown]
.long 0xBF8C4F76
.long 0x7FD20390
.long 0xD3CD80AC, 0x06B20D40
.long 0xE05C1000, 0x4D0D908A
.long 0xD3CD80B0, 0x06C20144
.long 0xD3CD80B4, 0x06D20544
.long 0x7FF0ACF9, 0x000406EC
.long 0x7E1014F9, 0x000614F8
.long 0x7E1414F9, 0x000614F9
.long 0xD3CD80B8, 0x06E20944
.long 0x7FF0ACF9, 0x000506EC
.long 0x7E1814F9, 0x000614F8
.long 0x7E1C14F9, 0x000614F9
.long 0xD3CD80BC, 0x06F20D44
.long 0x7FF0ACF9, 0x000406ED
.long 0x7E1014F9, 0x000615F8
.long 0x7E1414F9, 0x000615F9
.long 0xD3CD80C0, 0x07020148
.long 0x7FF0ACF9, 0x000506ED
.long 0x7E1814F9, 0x000615F8
.long 0x7E1C14F9, 0x000615F9
.long 0xD3CD80C4, 0x07120548
.long 0xBF8C4F76
.long 0x7FD40394
.long 0xD3CD80C8, 0x07220948
.long 0xE05C1000, 0x4E0D948A
	;; [unrolled: 1-line block ×19, first 2 shown]
.long 0xBF8CCB7F
.long 0xD3CD8000, 0x0402111A
.long 0xBF8C4F76
.long 0x7FD60398
.long 0xD3CD8004, 0x0412151A
.long 0xE05C1000, 0x4F0D988A
	;; [unrolled: 1-line block ×26, first 2 shown]
.long 0xBF8C4F76
.long 0x7FD8039C
.long 0xD3CD8020, 0x04821122
.long 0xE05C1000, 0x500D9C8A
.long 0xD3CD8024, 0x04921522
.long 0x7FF0ACF9, 0x000406F3
.long 0x7E0214F9, 0x000615F8
.long 0x7E0614F9, 0x000615F9
.long 0xD3CD8028, 0x04A21922
.long 0x7FF0ACF9, 0x000506F3
.long 0x7E0A14F9, 0x000615F8
.long 0x7E0E14F9, 0x000615F9
.long 0xD3CD802C, 0x04B21D22
.long 0x7FF0ACF9, 0x000406F4
.long 0x7E2014F9, 0x000614F8
.long 0x7E2414F9, 0x000614F9
.long 0xD3CD8030, 0x04C21126
.long 0x7FF0ACF9, 0x000506F4
.long 0x7E2814F9, 0x000614F8
.long 0x7E2C14F9, 0x000614F9
.long 0xD3CD8034, 0x04D21526
.long 0x7FF0ACF9, 0x000406F5
.long 0x7E2014F9, 0x000615F8
.long 0x7E2414F9, 0x000615F9
.long 0xD3CD8038, 0x04E21926
.long 0xBF8C4F76
.long 0x7FDA03A0
.long 0xD3CD803C, 0x04F21D26
.long 0xE05C1000, 0x510DA08A
	;; [unrolled: 1-line block ×23, first 2 shown]
.long 0xBF8C4F76
.long 0x7FDC03A4
.long 0xD3CD8058, 0x0562192E
.long 0xE05C1000, 0x520DA48A
	;; [unrolled: 1-line block ×9, first 2 shown]
.long 0xBF8C4F76
.long 0x7FDE03A8
.long 0xD3CD8078, 0x05E21936
.long 0xE0501000, 0x800CA889
.long 0xD3CD807C, 0x05F21D36
.long 0xD3CD8080, 0x0602113A
.long 0xD3CD8084, 0x0612153A
.long 0xD3CD8088, 0x0622193A
.long 0xD3CD808C, 0x06321D3A
.long 0xD3CD8090, 0x0642113E
.long 0xBF8C4F76
.long 0x7FE003AC
.long 0xD3CD8094, 0x0652153E
.long 0xE0501000, 0x3E0CAC89
.long 0xD3CD8098, 0x0662193E
.long 0xD3CD809C, 0x06721D3E
.long 0xD3CD80A0, 0x06821142
.long 0xD3CD80A4, 0x06921542
.long 0xD3CD80A8, 0x06A21942
.long 0xD3CD80AC, 0x06B21D42
	;; [unrolled: 10-line block ×3, first 2 shown]
.long 0xBF8C4F76
.long 0x7FE403B4
.long 0xD3CD80CC, 0x07321D4A
.long 0xE0501000, 0x400CB489
.long 0xD3CD80D0, 0x0742114E
.long 0xD3CD80D4, 0x0752154E
.long 0xD3CD80D8, 0x0762194E
.long 0xD3CD80DC, 0x07721D4E
.long 0xBF8CC87F
.long 0xD3CD8000, 0x04020150
.long 0xD3CD8004, 0x04120550
.long 0xBF8C4F76
.long 0x7FE603B8
.long 0xD3CD8008, 0x04220950
.long 0xE0501000, 0x410CB889
.long 0xD3CD800C, 0x04320D50
.long 0xD3CD8010, 0x04420154
.long 0xD3CD8014, 0x04520554
.long 0xD3CD8018, 0x04620954
.long 0xD3CD801C, 0x04720D54
.long 0xD3CD8020, 0x04820158
.long 0xBF8C4F76
.long 0x7FE803BC
.long 0xD3CD8024, 0x04920558
.long 0xE0501000, 0x420CBC89
.long 0xD3CD8028, 0x04A20958
.long 0xD3CD802C, 0x04B20D58
.long 0xD3CD8030, 0x04C2015C
.long 0xD3CD8034, 0x04D2055C
	;; [unrolled: 10-line block ×3, first 2 shown]
.long 0xD3CD8054, 0x05520564
.long 0xD3CD8058, 0x05620964
.long 0xD3CD805C, 0x05720D64
.long 0xBF8C4F76
.long 0x7FEC03C4
.long 0xD3CD8060, 0x05820168
.long 0xE0501000, 0x440CC489
	;; [unrolled: 1-line block ×8, first 2 shown]
.long 0xBF8C4F76
.long 0x7FEE03C8
.long 0xD3CD807C, 0x05F20D6C
.long 0xE0501000, 0x450CC889
.long 0xD3CD8080, 0x06020170
.long 0xD3CD8084, 0x06120570
.long 0xD3CD8088, 0x06220970
.long 0xD3CD808C, 0x06320D70
.long 0xD3CD8090, 0x06420174
.long 0xD3CD8094, 0x06520574
.long 0xBF8C4F76
.long 0xD9BE0000, 0x0000CC88
.long 0xD3CD8098, 0x06620974
.long 0xE0501000, 0x460CCC89
.long 0xD3CD809C, 0x06720D74
.long 0xD3CD80A0, 0x06820178
.long 0xD3CD80A4, 0x06920578
.long 0xD3CD80A8, 0x06A20978
.long 0xD3CD80AC, 0x06B20D78
.long 0xD3CD80B0, 0x06C2017C
.long 0xBF8C4F76
.long 0xD9BE0500, 0x0000D088
.long 0xD3CD80B4, 0x06D2057C
.long 0xE0501000, 0x470CD089
.long 0xD3CD80B8, 0x06E2097C
.long 0xD3CD80BC, 0x06F20D7C
.long 0xD3CD80C0, 0x07020180
.long 0xD3CD80C4, 0x07120580
.long 0xD3CD80C8, 0x07220980
.long 0xD3CD80CC, 0x07320D80
.long 0xBF8C4F76
.long 0xD9BE0A00, 0x0000D488
.long 0xD3CD80D0, 0x07420184
.long 0xE0501000, 0x480CD489
	;; [unrolled: 1-line block ×5, first 2 shown]
.long 0xBF8CC87F
.long 0xD3CD8000, 0x04022152
.long 0xD3CD8004, 0x04122552
	;; [unrolled: 1-line block ×3, first 2 shown]
.long 0xBF8C4F76
.long 0xD9BE0F00, 0x0000D888
.long 0xD3CD800C, 0x04322D52
	;; [unrolled: 1-line block ×9, first 2 shown]
.long 0xBF8C4F76
.long 0xD9BE1400, 0x0000DC88
.long 0xD3CD8028, 0x04A2295A
.long 0xE0501000, 0x4A0CDC89
.long 0xD3CD802C, 0x04B22D5A
.long 0xD3CD8030, 0x04C2215E
.long 0xD3CD8034, 0x04D2255E
.long 0xD3CD8038, 0x04E2295E
.long 0xD3CD803C, 0x04F22D5E
.long 0xD3CD8040, 0x05022162
.long 0xD3CD8044, 0x05122562
.long 0xBF8C4F76
.long 0xD9BE1900, 0x0000E088
.long 0xD3CD8048, 0x05222962
	;; [unrolled: 1-line block ×9, first 2 shown]
.long 0xBF8C4F76
.long 0xD9BE1E00, 0x0000E488
.long 0xD3CD8064, 0x0592256A
	;; [unrolled: 1-line block ×5, first 2 shown]
.long 0xBF8CC07F
.long 0xBF8A0000
.long 0xD3CD8070, 0x05C2216E
.long 0xD9FE0000, 0x1800008B
.long 0xD3CD8074, 0x05D2256E
.long 0xD9FE0A00, 0x1C00008B
.long 0xD3CD8078, 0x05E2296E
.long 0xD9FE1400, 0x2000008B
.long 0xD3CD807C, 0x05F22D6E
.long 0xD9FE1E00, 0x2400008B
.long 0xD3CD8080, 0x06022172
.long 0xD9FE2800, 0x2800008B
.long 0xD3CD8084, 0x06122572
.long 0xD9FE3200, 0x2C00008B
.long 0xD3CD8088, 0x06222972
.long 0xD9FE3C00, 0x3000008B
.long 0xD3CD808C, 0x06322D72
.long 0xD9FE4600, 0x3400008B
.long 0xD3CD8090, 0x06422176
.long 0xD9FE5000, 0x3800008B
.long 0xD3CD8094, 0x06522576
.long 0xD9FE5A00, 0x3C00008B
.long 0xD3CD8098, 0x06622976
.long 0xD9FE6400, 0x4000008B
.long 0xD3CD809C, 0x06722D76
.long 0xD9FE6E00, 0x4400008B
.long 0xD3CD80A0, 0x0682217A
.long 0xD9FE7800, 0x4800008B
.long 0xD3CD80A4, 0x0692257A
.long 0xD9FE8200, 0x4C00008B
.long 0xD3CD80A8, 0x06A2297A
.long 0xD3CD80AC, 0x06B22D7A
.long 0xD3CD80B0, 0x06C2217E
.long 0xD3CD80B4, 0x06D2257E
.long 0xD3CD80B8, 0x06E2297E
.long 0xD3CD80BC, 0x06F22D7E
.long 0x7FF0ACF9, 0x000406E8
.long 0x7E0014F9, 0x000614F8
.long 0x7E0414F9, 0x000614F9
.long 0xD3CD80C0, 0x07022182
.long 0x7FF0ACF9, 0x000506E8
.long 0x7E0814F9, 0x000614F8
.long 0x7E0C14F9, 0x000614F9
.long 0xD3CD80C4, 0x07122582
.long 0x7FF0ACF9, 0x000406E9
.long 0x7E0014F9, 0x000615F8
.long 0x7E0414F9, 0x000615F9
.long 0xD3CD80C8, 0x07222982
.long 0x7FF0ACF9, 0x000506E9
.long 0x7E0814F9, 0x000615F8
.long 0x7E0C14F9, 0x000615F9
.long 0xD3CD80CC, 0x07322D82
.long 0x7FF0ACF9, 0x000406EA
.long 0x7E0214F9, 0x000614F8
.long 0x7E0614F9, 0x000614F9
.long 0xD3CD80D0, 0x07422186
.long 0x7FF0ACF9, 0x000506EA
.long 0x7E0A14F9, 0x000614F8
.long 0x7E0E14F9, 0x000614F9
.long 0xD3CD80D4, 0x07522586
.long 0x7FF0ACF9, 0x000406EB
.long 0x7E0214F9, 0x000615F8
.long 0x7E0614F9, 0x000615F9
.long 0xD3CD80D8, 0x07622986
.long 0x7FF0ACF9, 0x000506EB
.long 0x7E0A14F9, 0x000615F8
.long 0x7E0E14F9, 0x000615F9
.long 0xD3CD80DC, 0x07722D86
.long 0x808B810B
.long 0xBF00820B
	;; [unrolled: 1-line block ×4, first 2 shown]
.long 0xD3CD8000, 0x04020118
.long 0xD9FE0040, 0x5000008B
.long 0x80300F30
.long 0xD3CD8004, 0x04120518
.long 0xD9FE0A40, 0x5400008B
.long 0x82318031
	;; [unrolled: 3-line block ×12, first 2 shown]
.long 0xD3CD8030, 0x04C20124
.long 0xD9FE7840, 0x8000008B
	;; [unrolled: 1-line block ×46, first 2 shown]
.long 0xBF8CC07F
.long 0xBF8A0000
.long 0xD3CD808C, 0x06320D38
.long 0xBF8C4F76
.long 0xD9BE0000, 0x00008C88
.long 0xD3CD8090, 0x0642013C
	;; [unrolled: 1-line block ×11, first 2 shown]
.long 0xBF8C4F75
.long 0xD9BE0500, 0x00009088
.long 0xD3CD80AC, 0x06B20D40
	;; [unrolled: 1-line block ×8, first 2 shown]
.long 0xBF8C4F74
.long 0xD9BE0A00, 0x00009488
.long 0xD3CD80C8, 0x07220948
	;; [unrolled: 1-line block ×7, first 2 shown]
.long 0xBF8CCB7F
.long 0xD3CD8000, 0x0402111A
.long 0xBF8C4F73
.long 0xD9BE0F00, 0x00009888
.long 0xD3CD8004, 0x0412151A
	;; [unrolled: 1-line block ×26, first 2 shown]
.long 0xBF8C4F72
.long 0xD9BE1400, 0x00009C88
.long 0xD3CD8020, 0x04821122
	;; [unrolled: 1-line block ×29, first 2 shown]
.long 0xBF8C4F71
.long 0xD9BE1900, 0x0000A088
.long 0xD3CD803C, 0x04F21D26
	;; [unrolled: 1-line block ×17, first 2 shown]
.long 0xBF8C4F70
.long 0xD9BE1E00, 0x0000A488
.long 0xD3CD8058, 0x0562192E
	;; [unrolled: 1-line block ×9, first 2 shown]
.long 0xBF8C0F7F
.long 0x7FD003A8
.long 0xD3CD8078, 0x05E21936
.long 0xD3CD807C, 0x05F21D36
.long 0xD3CD8080, 0x0602113A
.long 0xD3CD8084, 0x0612153A
.long 0xD3CD8088, 0x0622193A
.long 0xD3CD808C, 0x06321D3A
.long 0xD3CD8090, 0x0642113E
.long 0xBF8C0F7E
.long 0x7FD203AC
.long 0xD3CD8094, 0x0652153E
.long 0xD3CD8098, 0x0662193E
.long 0xD3CD809C, 0x06721D3E
.long 0xD3CD80A0, 0x06821142
.long 0xD3CD80A4, 0x06921542
.long 0xD3CD80A8, 0x06A21942
.long 0xD3CD80AC, 0x06B21D42
	;; [unrolled: 9-line block ×3, first 2 shown]
.long 0xBF8C0F7C
.long 0x7FD603B4
.long 0xD3CD80CC, 0x07321D4A
.long 0xD3CD80D0, 0x0742114E
	;; [unrolled: 1-line block ×5, first 2 shown]
.long 0xBF8CC87F
.long 0xD3CD8000, 0x04020150
.long 0xD3CD8004, 0x04120550
.long 0xBF8C0F7B
.long 0x7FD803B8
.long 0xD3CD8008, 0x04220950
.long 0xD3CD800C, 0x04320D50
.long 0xD3CD8010, 0x04420154
.long 0xD3CD8014, 0x04520554
.long 0xD3CD8018, 0x04620954
.long 0xD3CD801C, 0x04720D54
.long 0xD3CD8020, 0x04820158
.long 0xBF8C0F7A
.long 0x7FDA03BC
.long 0xD3CD8024, 0x04920558
.long 0xD3CD8028, 0x04A20958
.long 0xD3CD802C, 0x04B20D58
.long 0xD3CD8030, 0x04C2015C
.long 0xD3CD8034, 0x04D2055C
	;; [unrolled: 9-line block ×3, first 2 shown]
.long 0xD3CD8054, 0x05520564
.long 0xD3CD8058, 0x05620964
.long 0xD3CD805C, 0x05720D64
.long 0xBF8C0F78
.long 0x7FDE03C4
.long 0xD3CD8060, 0x05820168
.long 0xD3CD8064, 0x05920568
.long 0xD3CD8068, 0x05A20968
.long 0xD3CD806C, 0x05B20D68
.long 0xD3CD8070, 0x05C2016C
.long 0xD3CD8074, 0x05D2056C
.long 0xD3CD8078, 0x05E2096C
.long 0xBF8C0F77
.long 0x7FE003C8
.long 0xD3CD807C, 0x05F20D6C
.long 0xD3CD8080, 0x06020170
.long 0xD3CD8084, 0x06120570
.long 0xD3CD8088, 0x06220970
	;; [unrolled: 9-line block ×5, first 2 shown]
.long 0xBF8CC87F
.long 0xD3CD8000, 0x04022152
.long 0xD3CD8004, 0x04122552
	;; [unrolled: 1-line block ×3, first 2 shown]
.long 0xBF8C0F73
.long 0x7FE803D8
.long 0xD3CD800C, 0x04322D52
.long 0xD3CD8010, 0x04422156
	;; [unrolled: 1-line block ×7, first 2 shown]
.long 0xBF8C0F72
.long 0x7FEA03DC
.long 0xD3CD8028, 0x04A2295A
.long 0xD3CD802C, 0x04B22D5A
	;; [unrolled: 1-line block ×8, first 2 shown]
.long 0xBF8C0F71
.long 0x7FEC03E0
.long 0xD3CD8048, 0x05222962
.long 0xD3CD804C, 0x05322D62
	;; [unrolled: 1-line block ×7, first 2 shown]
.long 0xBF8C0F70
.long 0x7FEE03E4
.long 0xD3CD8064, 0x0592256A
.long 0xD3CD8068, 0x05A2296A
	;; [unrolled: 1-line block ×3, first 2 shown]
.long 0xBF8CC07F
.long 0xBF8A0000
.long 0xD3CD8070, 0x05C2216E
.long 0xD9FE0000, 0x1800008B
	;; [unrolled: 1-line block ×66, first 2 shown]
.long 0xBF06812E
.long 0xBF840000
	;; [unrolled: 1-line block ×3, first 2 shown]
.long 0xD3CD8000, 0x04020118
.long 0xD3CD8004, 0x04120518
.long 0xD3CD8008, 0x04220918
.long 0xD3CD800C, 0x04320D18
.long 0xD3CD8010, 0x0442011C
.long 0xD9FE0040, 0x5000008B
.long 0xD3CD8014, 0x0452051C
.long 0xD9FE0A40, 0x5400008B
.long 0xD3CD8018, 0x0462091C
.long 0xD9FE1440, 0x5800008B
.long 0xD3CD801C, 0x04720D1C
.long 0xD9FE1E40, 0x5C00008B
.long 0xD3CD8020, 0x04820120
.long 0xD9FE2840, 0x6000008B
.long 0xD3CD8024, 0x04920520
.long 0xD9FE3240, 0x6400008B
.long 0xD3CD8028, 0x04A20920
.long 0xD9FE3C40, 0x6800008B
.long 0xD3CD802C, 0x04B20D20
.long 0xD9FE4640, 0x6C00008B
.long 0xD3CD8030, 0x04C20124
.long 0xD9FE5040, 0x7000008B
.long 0xD3CD8034, 0x04D20524
.long 0xD9FE5A40, 0x7400008B
.long 0xD3CD8038, 0x04E20924
.long 0xD9FE6440, 0x7800008B
.long 0xD3CD803C, 0x04F20D24
.long 0xD9FE6E40, 0x7C00008B
.long 0xD3CD8040, 0x05020128
.long 0xD9FE7840, 0x8000008B
.long 0xD3CD8044, 0x05120528
.long 0xD9FE8240, 0x8400008B
.long 0xD3CD8048, 0x05220928
.long 0xD3CD804C, 0x05320D28
.long 0xD3CD8050, 0x0542012C
.long 0xD3CD8054, 0x0552052C
.long 0xD3CD8058, 0x0562092C
.long 0xD3CD805C, 0x05720D2C
.long 0xD3CD8060, 0x05820130
.long 0xD3CD8064, 0x05920530
.long 0xD3CD8068, 0x05A20930
.long 0xD3CD806C, 0x05B20D30
.long 0xD3CD8070, 0x05C20134
.long 0xD3CD8074, 0x05D20534
.long 0xD3CD8078, 0x05E20934
.long 0xD3CD807C, 0x05F20D34
.long 0xD3CD8080, 0x06020138
.long 0xD3CD8084, 0x06120538
.long 0xD3CD8088, 0x06220938
.long 0xD3CD808C, 0x06320D38
.long 0xD3CD8090, 0x0642013C
.long 0xD3CD8094, 0x0652053C
.long 0xD3CD8098, 0x0662093C
.long 0xD3CD809C, 0x06720D3C
.long 0xD3CD80A0, 0x06820140
.long 0xD3CD80A4, 0x06920540
.long 0xD3CD80A8, 0x06A20940
.long 0xD3CD80AC, 0x06B20D40
.long 0xD3CD80B0, 0x06C20144
.long 0xD3CD80B4, 0x06D20544
.long 0xD3CD80B8, 0x06E20944
.long 0xD3CD80BC, 0x06F20D44
.long 0x7FF0ACF9, 0x000406EC
.long 0x7E1014F9, 0x000614F8
.long 0x7E1414F9, 0x000614F9
.long 0xD3CD80C0, 0x07020148
.long 0x7FF0ACF9, 0x000506EC
.long 0x7E1814F9, 0x000614F8
.long 0x7E1C14F9, 0x000614F9
.long 0xD3CD80C4, 0x07120548
.long 0x7FF0ACF9, 0x000406ED
.long 0x7E1014F9, 0x000615F8
.long 0x7E1414F9, 0x000615F9
.long 0xD3CD80C8, 0x07220948
.long 0x7FF0ACF9, 0x000506ED
.long 0x7E1814F9, 0x000615F8
.long 0x7E1C14F9, 0x000615F9
.long 0xD3CD80CC, 0x07320D48
.long 0x7FF0ACF9, 0x000406EE
.long 0x7E1214F9, 0x000614F8
.long 0x7E1614F9, 0x000614F9
.long 0xD3CD80D0, 0x0742014C
.long 0x7FF0ACF9, 0x000506EE
.long 0x7E1A14F9, 0x000614F8
.long 0x7E1E14F9, 0x000614F9
.long 0xD3CD80D4, 0x0752054C
.long 0x7FF0ACF9, 0x000406EF
.long 0x7E1214F9, 0x000615F8
.long 0x7E1614F9, 0x000615F9
.long 0xD3CD80D8, 0x0762094C
.long 0x7FF0ACF9, 0x000506EF
.long 0x7E1A14F9, 0x000615F8
.long 0x7E1E14F9, 0x000615F9
.long 0xD3CD80DC, 0x07720D4C
.long 0xBF8CC87F
.long 0xD3CD8000, 0x0402111A
.long 0x7FF0ACF9, 0x000406F0
	;; [unrolled: 1-line block ×104, first 2 shown]
.long 0xBF8CC07F
.long 0xD3CD8000, 0x04020150
.long 0xD3CD8004, 0x04120550
	;; [unrolled: 1-line block ×54, first 2 shown]
.long 0xBF8CC07F
.long 0xBF8A0000
.long 0xD3CD80D8, 0x07620984
.long 0xD3CD80DC, 0x07720D84
.long 0xBF8CC07F
.long 0xD3CD8000, 0x04022152
.long 0xD3CD8004, 0x04122552
	;; [unrolled: 1-line block ×56, first 2 shown]
.long 0x860B1BBF
.long 0xBF070908
	;; [unrolled: 1-line block ×15, first 2 shown]
.long 0xD2850001, 0x00020284
.long 0xD2850001, 0x00020228
.long 0x68000101
.long 0x2003F486
	;; [unrolled: 1-line block ×4, first 2 shown]
.long 0xD1FE0089, 0x02020101
.long 0x69131284
.long 0x923E8128
	;; [unrolled: 1-line block ×16, first 2 shown]
.long 0xE0801000, 0x800C8C89
.long 0xE0801001, 0x800C0089
.long 0xE0841002, 0x800C0189
.long 0xE0841003, 0x800C0289
.long 0xBF8C0F72
.long 0x24000088
.long 0x2918018C
.long 0xBF8C0F71
.long 0x2918038C
.long 0xBF8C0F70
.long 0x24040488
.long 0x2918058C
.long 0xE0801000, 0x3E0C9089
.long 0xE0801001, 0x3E0C0089
.long 0xE0841002, 0x3E0C0189
.long 0xE0841003, 0x3E0C0289
.long 0xBF8C0F72
.long 0x24000088
.long 0x29200190
.long 0xBF8C0F71
.long 0x29200390
.long 0xBF8C0F70
.long 0x24040488
.long 0x29200590
.long 0xE0801000, 0x3F0C9489
.long 0xE0801001, 0x3F0C0089
.long 0xE0841002, 0x3F0C0189
.long 0xE0841003, 0x3F0C0289
.long 0xBF8C0F72
.long 0x24000088
.long 0x29280194
.long 0xBF8C0F71
.long 0x29280394
.long 0xBF8C0F70
.long 0x24040488
.long 0x29280594
.long 0xE0801000, 0x400C9889
.long 0xE0801001, 0x400C0089
.long 0xE0841002, 0x400C0189
.long 0xE0841003, 0x400C0289
.long 0xBF8C0F72
.long 0x24000088
.long 0x29300198
.long 0xBF8C0F71
.long 0x29300398
.long 0xBF8C0F70
.long 0x24040488
.long 0x29300598
.long 0xE0801000, 0x410C9C89
.long 0xE0801001, 0x410C0089
.long 0xE0841002, 0x410C0189
.long 0xE0841003, 0x410C0289
.long 0xBF8C0F72
.long 0x24000088
.long 0x2938019C
.long 0xBF8C0F71
.long 0x2938039C
.long 0xBF8C0F70
.long 0x24040488
.long 0x2938059C
.long 0xE0801000, 0x420CA089
.long 0xE0801001, 0x420C0089
.long 0xE0841002, 0x420C0189
.long 0xE0841003, 0x420C0289
.long 0xBF8C0F72
.long 0x24000088
.long 0x294001A0
.long 0xBF8C0F71
.long 0x294003A0
.long 0xBF8C0F70
.long 0x24040488
.long 0x294005A0
.long 0xE0801000, 0x430CA489
.long 0xE0801001, 0x430C0089
.long 0xE0841002, 0x430C0189
.long 0xE0841003, 0x430C0289
.long 0xBF8C0F72
.long 0x24000088
.long 0x294801A4
.long 0xBF8C0F71
.long 0x294803A4
.long 0xBF8C0F70
.long 0x24040488
.long 0x294805A4
.long 0xE0801000, 0x440CA889
.long 0xE0801001, 0x440C0089
.long 0xE0841002, 0x440C0189
.long 0xE0841003, 0x440C0289
.long 0xBF8C0F72
.long 0x24000088
.long 0x295001A8
.long 0xBF8C0F71
.long 0x295003A8
.long 0xBF8C0F70
.long 0x24040488
.long 0x295005A8
.long 0xE0801000, 0x450CAC89
.long 0xE0801001, 0x450C0089
.long 0xE0841002, 0x450C0189
.long 0xE0841003, 0x450C0289
.long 0xBF8C0F72
.long 0x24000088
.long 0x295801AC
.long 0xBF8C0F71
.long 0x295803AC
.long 0xBF8C0F70
.long 0x24040488
.long 0x295805AC
.long 0xE0801000, 0x460CB089
.long 0xE0801001, 0x460C0089
.long 0xE0841002, 0x460C0189
.long 0xE0841003, 0x460C0289
.long 0xBF8C0F72
.long 0x24000088
.long 0x296001B0
.long 0xBF8C0F71
.long 0x296003B0
.long 0xBF8C0F70
.long 0x24040488
.long 0x296005B0
.long 0xE0801000, 0x470CB489
.long 0xE0801001, 0x470C0089
.long 0xE0841002, 0x470C0189
.long 0xE0841003, 0x470C0289
.long 0xBF8C0F72
.long 0x24000088
.long 0x296801B4
.long 0xBF8C0F71
.long 0x296803B4
.long 0xBF8C0F70
.long 0x24040488
.long 0x296805B4
.long 0xE0801000, 0x480CB889
.long 0xE0801001, 0x480C0089
.long 0xE0841002, 0x480C0189
.long 0xE0841003, 0x480C0289
.long 0xBF8C0F72
.long 0x24000088
.long 0x297001B8
.long 0xBF8C0F71
.long 0x297003B8
.long 0xBF8C0F70
.long 0x24040488
.long 0x297005B8
.long 0xE0801000, 0x490CBC89
.long 0xE0801001, 0x490C0089
.long 0xE0841002, 0x490C0189
.long 0xE0841003, 0x490C0289
.long 0xBF8C0F72
.long 0x24000088
.long 0x297801BC
.long 0xBF8C0F71
.long 0x297803BC
.long 0xBF8C0F70
.long 0x24040488
.long 0x297805BC
.long 0xE0801000, 0x4A0CC089
.long 0xE0801001, 0x4A0C0089
.long 0xE0841002, 0x4A0C0189
.long 0xE0841003, 0x4A0C0289
.long 0xBF8C0F72
.long 0x24000088
.long 0x298001C0
.long 0xBF8C0F71
.long 0x298003C0
.long 0xBF8C0F70
.long 0x24040488
.long 0x298005C0
.long 0xE0801000, 0x4B0CC489
.long 0xE0801001, 0x4B0C0089
.long 0xE0841002, 0x4B0C0189
.long 0xE0841003, 0x4B0C0289
.long 0xBF8C0F72
.long 0x24000088
.long 0x298801C4
.long 0xBF8C0F71
.long 0x298803C4
.long 0xBF8C0F70
.long 0x24040488
.long 0x298805C4
.long 0xE0801000, 0x4C0CC889
.long 0xE0801001, 0x4C0C0089
.long 0xE0841002, 0x4C0C0189
.long 0xE0841003, 0x4C0C0289
.long 0xBF8C0F72
.long 0x24000088
.long 0x299001C8
.long 0xBF8C0F71
.long 0x299003C8
.long 0xBF8C0F70
.long 0x24040488
.long 0x299005C8
.long 0xE0901000, 0x800DCC8A
.long 0xE0941002, 0x800D008A
.long 0xBF8C0F70
.long 0x299801CC
.long 0xE0901004, 0x800DCD8A
.long 0xE0941006, 0x800D008A
.long 0xBF8C0F70
.long 0x299A01CD
	;; [unrolled: 4-line block ×28, first 2 shown]
.long 0xBF8C0F70
.long 0xBF8A0000
	;; [unrolled: 1-line block ×18, first 2 shown]
.long 0xD9BE0000, 0x0000CC88
.long 0xD9BE0500, 0x0000D088
.long 0xD9BE0A00, 0x0000D488
.long 0xD9BE0F00, 0x0000D888
.long 0xD9BE1400, 0x0000DC88
.long 0xD9BE1900, 0x0000E088
.long 0xD9BE1E00, 0x0000E488
.long 0x2603F4BF
.long 0x2600028F
.long 0x20020284
.long 0x26020280
.long 0x24020284
.long 0x68000101
.long 0x24000082
.long 0x2603F4BF
.long 0x20020284
.long 0x2402028A
.long 0x68000101
.long 0x2003F486
.long 0x26020283
.long 0x24020286
.long 0x68000101
.long 0x2605F4BF
.long 0x2602048F
.long 0x24020286
.long 0x20040484
.long 0x26040480
.long 0x2404048A
.long 0x68020302
.long 0x2605F4BF
.long 0x20040484
.long 0x24040482
.long 0x68020302
.long 0x2001F488
.long 0xBE8500FF, 0x000000E0
.long 0xD2850000, 0x00020005
	;; [unrolled: 1-line block ×3, first 2 shown]
.long 0x20051687
.long 0x24040485
	;; [unrolled: 1-line block ×5, first 2 shown]
.long 0x7FF0ACF9, 0x000406E8
.long 0x7E0014F9, 0x000614F8
	;; [unrolled: 1-line block ×24, first 2 shown]
.long 0x7FD003EC
.long 0x7FD203ED
	;; [unrolled: 1-line block ×12, first 2 shown]
.long 0xD8EC0000, 0x1800008B
.long 0xD8EC0A00, 0x1A00008B
	;; [unrolled: 1-line block ×14, first 2 shown]
.long 0xBE8500A0
.long 0x33171605
	;; [unrolled: 1-line block ×6, first 2 shown]
.long 0xD0C60054, 0x00001798
.long 0xD1000000, 0x01510100
	;; [unrolled: 1-line block ×37, first 2 shown]
.long 0x6B31300B
.long 0xD0C10054, 0x00010998
.long 0x8656830B
.long 0x80D65684
	;; [unrolled: 1-line block ×3, first 2 shown]
.long 0xD28F009A, 0x00020056
.long 0xD1000000, 0x01533500
.long 0xD1000001, 0x01533701
.long 0xD28F009A, 0x00020456
.long 0xD1000002, 0x01533502
.long 0xD1000003, 0x01533703
.long 0xD28F009A, 0x00020856
.long 0xD1000004, 0x01533504
.long 0xD1000005, 0x01533705
.long 0xD28F009A, 0x00020C56
.long 0xD1000006, 0x01533506
.long 0xD1000007, 0x01533707
.long 0xD28F009A, 0x00023056
.long 0xD1000018, 0x01533518
.long 0xD1000019, 0x01533719
.long 0xD28F009A, 0x00023456
.long 0xD100001A, 0x0153351A
.long 0xD100001B, 0x0153371B
.long 0xD28F009A, 0x00023856
.long 0xD100001C, 0x0153351C
.long 0xD100001D, 0x0153371D
.long 0xD28F009A, 0x00023C56
.long 0xD100001E, 0x0153351E
.long 0xD100001F, 0x0153371F
.long 0xD28F009A, 0x00024056
.long 0xD1000020, 0x01533520
.long 0xD1000021, 0x01533721
.long 0xD28F009A, 0x00024456
.long 0xD1000022, 0x01533522
.long 0xD1000023, 0x01533723
.long 0xD28F009A, 0x00024856
.long 0xD1000024, 0x01533524
.long 0xD1000025, 0x01533725
.long 0xD28F009A, 0x00024C56
.long 0xD1000026, 0x01533526
.long 0xD1000027, 0x01533727
.long 0xD28F009A, 0x00025056
.long 0xD1000028, 0x01533528
.long 0xD1000029, 0x01533729
.long 0xD28F009A, 0x00025456
.long 0xD100002A, 0x0153352A
.long 0xD100002B, 0x0153372B
.long 0xD28F009A, 0x00025856
.long 0xD100002C, 0x0153352C
.long 0xD100002D, 0x0153372D
.long 0xD28F009A, 0x00025C56
.long 0xD100002E, 0x0153352E
.long 0xD100002F, 0x0153372F
.long 0xD28F009A, 0x00026056
.long 0xD1000030, 0x01533530
.long 0xD1000031, 0x01533731
.long 0xD28F009A, 0x00026456
.long 0xD1000032, 0x01533532
.long 0xD1000033, 0x01533733
.long 0xBF800001
.long 0xD3CD8000, 0x04020118
.long 0xD3CD8004, 0x04120518
	;; [unrolled: 1-line block ×56, first 2 shown]
.long 0x818B900B
.long 0x800C900C
	;; [unrolled: 1-line block ×8, first 2 shown]
.long 0xC00E0C00, 0x00000058
.long 0xC00A0E00, 0x00000078
	;; [unrolled: 1-line block ×3, first 2 shown]
.long 0xBF82000A
.long 0xC00A0C03, 0x00000070
.long 0xC00A0D03, 0x00000090
	;; [unrolled: 1-line block ×5, first 2 shown]
.long 0x2009F486
.long 0x200A0882
.long 0xD2850005, 0x00020A90
.long 0x2603F4BF
.long 0x20020284
	;; [unrolled: 1-line block ×3, first 2 shown]
.long 0xD1FE0001, 0x02020305
.long 0xD2850002, 0x00004D01
	;; [unrolled: 1-line block ×3, first 2 shown]
.long 0x26000883
.long 0xD2850000, 0x00020090
.long 0x260BF48F
.long 0xD1FE0000, 0x020A0105
.long 0x920502FF, 0x00000100
.long 0x68000005
.long 0x920503FF, 0x000000E0
.long 0x68020205
.long 0xBF8CC07F
	;; [unrolled: 1-line block ×4, first 2 shown]
.long 0x864818FF, 0x000000FF
.long 0x80490DC1
.long 0xBF094902
	;; [unrolled: 1-line block ×6, first 2 shown]
.long 0x924A19FF, 0x00000249
.long 0x8ECA904A
.long 0x9249FF19, 0x00002493
.long 0x804A4A49
.long 0x824B804B
.long 0x8FCAA14A
.long 0xBEC9004A
.long 0x924AFF49, 0x000000E0
.long 0x80C84A19
.long 0x80490EC1
	;; [unrolled: 1-line block ×6, first 2 shown]
.long 0xD1FE0006, 0x020A0103
.long 0xD3D84008, 0x18000100
	;; [unrolled: 1-line block ×65, first 2 shown]
.long 0xBF800001
.long 0xE07C1000, 0x80040806
.long 0x8E3E8224
.long 0x80103E10
.long 0x82118011
.long 0xE07C1000, 0x80040C06
.long 0x8E3E8224
.long 0x80103E10
	;; [unrolled: 4-line block ×15, first 2 shown]
.long 0x82118011
.long 0xE07C1000, 0x80044406
.long 0xBF800000
.long 0xD3D84008, 0x18000140
.long 0xD3D84009, 0x18000144
	;; [unrolled: 1-line block ×64, first 2 shown]
.long 0xBF800001
.long 0x923EB424
	;; [unrolled: 1-line block ×4, first 2 shown]
.long 0xE07C1000, 0x80040806
.long 0x8E3E8224
.long 0x80103E10
.long 0x82118011
.long 0xE07C1000, 0x80040C06
.long 0x8E3E8224
.long 0x80103E10
.long 0x82118011
	;; [unrolled: 4-line block ×15, first 2 shown]
.long 0xE07C1000, 0x80044406
.long 0xBF800000
.long 0xD3D84008, 0x18000180
.long 0xD3D84009, 0x18000184
	;; [unrolled: 1-line block ×64, first 2 shown]
.long 0xBF800001
.long 0x923EB424
.long 0x80103E10
.long 0x82118011
.long 0xE07C1000, 0x80040806
.long 0x8E3E8224
.long 0x80103E10
.long 0x82118011
.long 0xE07C1000, 0x80040C06
.long 0x8E3E8224
.long 0x80103E10
.long 0x82118011
	;; [unrolled: 4-line block ×15, first 2 shown]
.long 0xE07C1000, 0x80044406
.long 0xBF800000
.long 0xD3D84008, 0x180001C0
.long 0xD3D84009, 0x180001C4
	;; [unrolled: 1-line block ×32, first 2 shown]
.long 0xBF800001
.long 0x923EB424
.long 0x80103E10
.long 0x82118011
.long 0xE07C1000, 0x80040806
.long 0x8E3E8224
.long 0x80103E10
.long 0x82118011
.long 0xE07C1000, 0x80040C06
.long 0x8E3E8224
.long 0x80103E10
.long 0x82118011
.long 0xE07C1000, 0x80041006
.long 0x8E3E8224
.long 0x80103E10
.long 0x82118011
.long 0xE07C1000, 0x80041406
.long 0x923EB424
.long 0x80103E10
.long 0x82118011
.long 0xE07C1000, 0x80041806
.long 0x8E3E8224
.long 0x80103E10
.long 0x82118011
.long 0xE07C1000, 0x80041C06
.long 0x8E3E8224
.long 0x80103E10
.long 0x82118011
.long 0xE07C1000, 0x80042006
.long 0x8E3E8224
.long 0x80103E10
.long 0x82118011
.long 0xE07C1000, 0x80042406
.long 0xBF800000
.long 0xBF82059D
.long 0x7E9C02FF, 0x80000000
.long 0xD0C90048, 0x00003100
.long 0xD0C9004C, 0x00003301
.long 0x86CC4C48
.long 0xD1FE0006, 0x020A0103
.long 0xD1000006, 0x01320D4E
.long 0xD1196A01, 0x00010301
.long 0xD1340002, 0x00004D02
.long 0xD1340003, 0x00004903
.long 0xD0C90048, 0x00003100
.long 0xD0C9004C, 0x00003301
.long 0x86CC4C48
.long 0xD1FE0007, 0x020A0103
.long 0xD1000007, 0x01320F4E
.long 0xD1196A01, 0x00010301
.long 0xD1340002, 0x00004D02
.long 0xD1340003, 0x00004903
.long 0xD0C90048, 0x00003100
.long 0xD0C9004C, 0x00003301
.long 0x86CC4C48
.long 0xD1FE0010, 0x020A0103
.long 0xD1000010, 0x0132214E
.long 0xD1196A01, 0x00010301
.long 0xD1340002, 0x00004D02
.long 0xD1340003, 0x00004903
.long 0xD0C90048, 0x00003100
.long 0xD0C9004C, 0x00003301
.long 0x86CC4C48
.long 0xD1FE0011, 0x020A0103
.long 0xD1000011, 0x0132234E
.long 0xD1196A01, 0x00011B01
.long 0x92488D26
.long 0xD1340002, 0x00009102
.long 0x92488D24
.long 0xD1340003, 0x00009103
.long 0xD0C90048, 0x00003100
.long 0xD0C9004C, 0x00003301
.long 0x86CC4C48
.long 0xD1FE0012, 0x020A0103
.long 0xD1000012, 0x0132254E
.long 0xD1196A01, 0x00010301
.long 0xD1340002, 0x00004D02
.long 0xD1340003, 0x00004903
.long 0xD0C90048, 0x00003100
.long 0xD0C9004C, 0x00003301
.long 0x86CC4C48
.long 0xD1FE0013, 0x020A0103
.long 0xD1000013, 0x0132274E
.long 0xD1196A01, 0x00010301
.long 0xD1340002, 0x00004D02
.long 0xD1340003, 0x00004903
.long 0xD0C90048, 0x00003100
.long 0xD0C9004C, 0x00003301
.long 0x86CC4C48
.long 0xD1FE0024, 0x020A0103
.long 0xD1000024, 0x0132494E
.long 0xD1196A01, 0x00010301
.long 0xD1340002, 0x00004D02
.long 0xD1340003, 0x00004903
.long 0xD0C90048, 0x00003100
.long 0xD0C9004C, 0x00003301
.long 0x86CC4C48
.long 0xD1FE0025, 0x020A0103
.long 0xD1000025, 0x01324B4E
.long 0xD1196A01, 0x00011B01
.long 0x92488D26
.long 0xD1340002, 0x00009102
	;; [unrolled: 34-line block ×3, first 2 shown]
.long 0x92488D24
.long 0xD1340003, 0x00009103
.long 0xD0C90048, 0x00003100
.long 0xD0C9004C, 0x00003301
.long 0x86CC4C48
.long 0xD1FE003A, 0x020A0103
.long 0xD100003A, 0x0132754E
.long 0xD1196A01, 0x00010301
.long 0xD1340002, 0x00004D02
.long 0xD1340003, 0x00004903
.long 0xD0C90048, 0x00003100
.long 0xD0C9004C, 0x00003301
.long 0x86CC4C48
.long 0xD1FE003B, 0x020A0103
.long 0xD100003B, 0x0132774E
.long 0xD1196A01, 0x00010301
.long 0xD1340002, 0x00004D02
	;; [unrolled: 8-line block ×4, first 2 shown]
.long 0xD3D8400A, 0x18000108
.long 0xD3D8400B, 0x1800010C
	;; [unrolled: 1-line block ×62, first 2 shown]
.long 0xBF800001
.long 0xE07C1000, 0x80040806
.long 0xE07C1000, 0x80040C07
	;; [unrolled: 1-line block ×16, first 2 shown]
.long 0xBF800000
.long 0x7E9C02FF, 0x80000000
.long 0xD1196A01, 0x00011B01
.long 0x92488D26
.long 0xD1340002, 0x00009102
.long 0x92488D24
.long 0xD1340003, 0x00009103
.long 0xD0C90048, 0x00003100
.long 0xD0C9004C, 0x00003301
.long 0x86CC4C48
.long 0xD1FE0006, 0x020A0103
.long 0xD1000006, 0x01320D4E
.long 0xD1196A01, 0x00010301
.long 0xD1340002, 0x00004D02
.long 0xD1340003, 0x00004903
.long 0xD0C90048, 0x00003100
.long 0xD0C9004C, 0x00003301
.long 0x86CC4C48
.long 0xD1FE0007, 0x020A0103
.long 0xD1000007, 0x01320F4E
.long 0xD1196A01, 0x00010301
.long 0xD1340002, 0x00004D02
.long 0xD1340003, 0x00004903
.long 0xD0C90048, 0x00003100
.long 0xD0C9004C, 0x00003301
.long 0x86CC4C48
.long 0xD1FE0010, 0x020A0103
.long 0xD1000010, 0x0132214E
.long 0xD1196A01, 0x00010301
.long 0xD1340002, 0x00004D02
.long 0xD1340003, 0x00004903
.long 0xD0C90048, 0x00003100
.long 0xD0C9004C, 0x00003301
.long 0x86CC4C48
.long 0xD1FE0011, 0x020A0103
.long 0xD1000011, 0x0132234E
.long 0xD1196A01, 0x00011B01
.long 0x92488D26
.long 0xD1340002, 0x00009102
.long 0x92488D24
.long 0xD1340003, 0x00009103
.long 0xD0C90048, 0x00003100
.long 0xD0C9004C, 0x00003301
.long 0x86CC4C48
.long 0xD1FE0012, 0x020A0103
.long 0xD1000012, 0x0132254E
.long 0xD1196A01, 0x00010301
.long 0xD1340002, 0x00004D02
.long 0xD1340003, 0x00004903
.long 0xD0C90048, 0x00003100
.long 0xD0C9004C, 0x00003301
.long 0x86CC4C48
.long 0xD1FE0013, 0x020A0103
.long 0xD1000013, 0x0132274E
.long 0xD1196A01, 0x00010301
.long 0xD1340002, 0x00004D02
.long 0xD1340003, 0x00004903
.long 0xD0C90048, 0x00003100
.long 0xD0C9004C, 0x00003301
.long 0x86CC4C48
.long 0xD1FE0024, 0x020A0103
.long 0xD1000024, 0x0132494E
.long 0xD1196A01, 0x00010301
.long 0xD1340002, 0x00004D02
.long 0xD1340003, 0x00004903
.long 0xD0C90048, 0x00003100
.long 0xD0C9004C, 0x00003301
.long 0x86CC4C48
.long 0xD1FE0025, 0x020A0103
	;; [unrolled: 34-line block ×4, first 2 shown]
.long 0xD100004D, 0x01329B4E
.long 0xD3D84008, 0x18000140
	;; [unrolled: 1-line block ×65, first 2 shown]
.long 0xBF800001
.long 0xE07C1000, 0x80040806
.long 0xE07C1000, 0x80040C07
	;; [unrolled: 1-line block ×16, first 2 shown]
.long 0xBF800000
.long 0x7E9C02FF, 0x80000000
.long 0xD1196A01, 0x00011B01
.long 0x92488D26
.long 0xD1340002, 0x00009102
.long 0x92488D24
.long 0xD1340003, 0x00009103
.long 0xD0C90048, 0x00003100
.long 0xD0C9004C, 0x00003301
.long 0x86CC4C48
.long 0xD1FE0006, 0x020A0103
.long 0xD1000006, 0x01320D4E
.long 0xD1196A01, 0x00010301
.long 0xD1340002, 0x00004D02
.long 0xD1340003, 0x00004903
.long 0xD0C90048, 0x00003100
.long 0xD0C9004C, 0x00003301
.long 0x86CC4C48
.long 0xD1FE0007, 0x020A0103
.long 0xD1000007, 0x01320F4E
.long 0xD1196A01, 0x00010301
.long 0xD1340002, 0x00004D02
.long 0xD1340003, 0x00004903
.long 0xD0C90048, 0x00003100
.long 0xD0C9004C, 0x00003301
.long 0x86CC4C48
.long 0xD1FE0010, 0x020A0103
.long 0xD1000010, 0x0132214E
.long 0xD1196A01, 0x00010301
.long 0xD1340002, 0x00004D02
.long 0xD1340003, 0x00004903
.long 0xD0C90048, 0x00003100
.long 0xD0C9004C, 0x00003301
.long 0x86CC4C48
.long 0xD1FE0011, 0x020A0103
.long 0xD1000011, 0x0132234E
.long 0xD1196A01, 0x00011B01
.long 0x92488D26
.long 0xD1340002, 0x00009102
.long 0x92488D24
.long 0xD1340003, 0x00009103
.long 0xD0C90048, 0x00003100
.long 0xD0C9004C, 0x00003301
.long 0x86CC4C48
.long 0xD1FE0012, 0x020A0103
.long 0xD1000012, 0x0132254E
.long 0xD1196A01, 0x00010301
.long 0xD1340002, 0x00004D02
.long 0xD1340003, 0x00004903
.long 0xD0C90048, 0x00003100
.long 0xD0C9004C, 0x00003301
.long 0x86CC4C48
.long 0xD1FE0013, 0x020A0103
.long 0xD1000013, 0x0132274E
.long 0xD1196A01, 0x00010301
.long 0xD1340002, 0x00004D02
.long 0xD1340003, 0x00004903
.long 0xD0C90048, 0x00003100
.long 0xD0C9004C, 0x00003301
.long 0x86CC4C48
.long 0xD1FE0024, 0x020A0103
.long 0xD1000024, 0x0132494E
.long 0xD1196A01, 0x00010301
.long 0xD1340002, 0x00004D02
.long 0xD1340003, 0x00004903
.long 0xD0C90048, 0x00003100
.long 0xD0C9004C, 0x00003301
.long 0x86CC4C48
.long 0xD1FE0025, 0x020A0103
	;; [unrolled: 34-line block ×4, first 2 shown]
.long 0xD100004D, 0x01329B4E
.long 0xD3D84008, 0x18000180
	;; [unrolled: 1-line block ×65, first 2 shown]
.long 0xBF800001
.long 0xE07C1000, 0x80040806
.long 0xE07C1000, 0x80040C07
	;; [unrolled: 1-line block ×16, first 2 shown]
.long 0xBF800000
.long 0x7E4C02FF, 0x80000000
.long 0xD1196A01, 0x00011B01
.long 0x92488D26
.long 0xD1340002, 0x00009102
.long 0x92488D24
.long 0xD1340003, 0x00009103
.long 0xD0C90048, 0x00003100
.long 0xD0C9004C, 0x00003301
.long 0x86CC4C48
.long 0xD1FE0006, 0x020A0103
.long 0xD1000006, 0x01320D26
.long 0xD1196A01, 0x00010301
.long 0xD1340002, 0x00004D02
.long 0xD1340003, 0x00004903
.long 0xD0C90048, 0x00003100
.long 0xD0C9004C, 0x00003301
.long 0x86CC4C48
.long 0xD1FE0007, 0x020A0103
.long 0xD1000007, 0x01320F26
.long 0xD1196A01, 0x00010301
.long 0xD1340002, 0x00004D02
.long 0xD1340003, 0x00004903
.long 0xD0C90048, 0x00003100
.long 0xD0C9004C, 0x00003301
.long 0x86CC4C48
.long 0xD1FE0010, 0x020A0103
.long 0xD1000010, 0x01322126
.long 0xD1196A01, 0x00010301
.long 0xD1340002, 0x00004D02
.long 0xD1340003, 0x00004903
.long 0xD0C90048, 0x00003100
	;; [unrolled: 1-line block ×3, first 2 shown]
.long 0x86CC4C48
.long 0xD1FE0011, 0x020A0103
.long 0xD1000011, 0x01322326
.long 0xD1196A01, 0x00011B01
.long 0x92488D26
.long 0xD1340002, 0x00009102
.long 0x92488D24
.long 0xD1340003, 0x00009103
.long 0xD0C90048, 0x00003100
.long 0xD0C9004C, 0x00003301
.long 0x86CC4C48
.long 0xD1FE0012, 0x020A0103
.long 0xD1000012, 0x01322526
.long 0xD1196A01, 0x00010301
.long 0xD1340002, 0x00004D02
.long 0xD1340003, 0x00004903
.long 0xD0C90048, 0x00003100
.long 0xD0C9004C, 0x00003301
.long 0x86CC4C48
.long 0xD1FE0013, 0x020A0103
.long 0xD1000013, 0x01322726
.long 0xD1196A01, 0x00010301
.long 0xD1340002, 0x00004D02
	;; [unrolled: 8-line block ×4, first 2 shown]
.long 0xD3D8400A, 0x180001C8
.long 0xD3D8400B, 0x180001CC
	;; [unrolled: 1-line block ×30, first 2 shown]
.long 0xBF800001
.long 0xE07C1000, 0x80040806
.long 0xE07C1000, 0x80040C07
	;; [unrolled: 1-line block ×8, first 2 shown]
.long 0xBF800000
.long 0xBF820000
	;; [unrolled: 1-line block ×3, first 2 shown]
.long 0x814A84FF, 0x0000F518
.long 0x80484A48
.long 0x82498049
	;; [unrolled: 1-line block ×6, first 2 shown]
.long 0xC0020158, 0x00000000
.long 0xBEAF00F2
.long 0xBF128032
	;; [unrolled: 1-line block ×3, first 2 shown]
.long 0xC0020BD9, 0x00000000
.long 0xBEC00034
.long 0xBEC10035
.long 0xBEC300FF, 0x00020000
.long 0xBF128034
.long 0xBF840002
	;; [unrolled: 1-line block ×12, first 2 shown]
.long 0xBEC700FF, 0x00020000
.long 0xBF128036
.long 0xBF840002
	;; [unrolled: 1-line block ×8, first 2 shown]
.long 0x923D02FF, 0x00000100
.long 0x6811F43D
.long 0x923D0439
	;; [unrolled: 1-line block ×4, first 2 shown]
.long 0xE0501000, 0x80110408
.long 0x2411F482
.long 0xBF8C0F70
.long 0xBF8A0000
.long 0xD81A0000, 0x00000408
.long 0xBF820012
.long 0xB4B80004
.long 0xBF850010
.long 0x92464682
.long 0x923D02FF, 0x00000100
.long 0x6811F43D
	;; [unrolled: 5-line block ×4, first 2 shown]
.long 0x7E08022C
.long 0xBF8CC07F
.long 0xD1050004, 0x00000B04
.long 0xD1050004, 0x00005F04
.long 0xBF800000
.long 0x7E580504
	;; [unrolled: 1-line block ×19, first 2 shown]
.long 0x810584FF, 0x0000EF7C
.long 0x803E053E
.long 0x823F803F
.long 0xBF820030
.long 0xBEBE1C00
.long 0x810584FF, 0x0000EF68
.long 0x803E053E
.long 0x823F803F
.long 0xBF82002A
.long 0xBEBE1C00
	;; [unrolled: 5-line block ×9, first 2 shown]
.long 0xBF841AC7
.long 0x864A18FF, 0x000000FF
.long 0x804B0DC1
.long 0xBF094B02
	;; [unrolled: 1-line block ×6, first 2 shown]
.long 0x924C19FF, 0x00000249
.long 0x8ECC904C
.long 0x924BFF19, 0x00002493
.long 0x804C4C4B
.long 0x824D804D
	;; [unrolled: 1-line block ×4, first 2 shown]
.long 0x924CFF4B, 0x000000E0
.long 0x80CA4C19
.long 0x804B0EC1
	;; [unrolled: 1-line block ×6, first 2 shown]
.long 0x924A02FF, 0x00000100
.long 0xD135000B, 0x00009500
.long 0x24161682
.long 0xBF8CC07F
.long 0xBF8A0000
.long 0xD9FE0000, 0x1000000B
.long 0x24180082
.long 0xE05C1000, 0x8010140C
.long 0xD1FE0009, 0x02060103
	;; [unrolled: 1-line block ×66, first 2 shown]
.long 0xBF800001
.long 0x0A30302C
	;; [unrolled: 1-line block ×66, first 2 shown]
.long 0xD0CC0034, 0x00010042
.long 0xD1000014, 0x00D228F2
	;; [unrolled: 1-line block ×10, first 2 shown]
.long 0xBEC81E3E
.long 0x7E300304
.long 0x7E320305
.long 0x7E340306
.long 0x7E360307
.long 0x7E301518
.long 0x7E321519
.long 0xD2A00018, 0x00023318
.long 0x7E34151A
.long 0x7E36151B
.long 0xD2A00019, 0x0002371A
.long 0xE0741000, 0x80041809
	;; [unrolled: 1-line block ×12, first 2 shown]
.long 0xBEC81E3E
.long 0x7E380304
.long 0x7E3A0305
.long 0x7E3C0306
.long 0x7E3E0307
.long 0x7E38151C
.long 0x7E3A151D
.long 0xD2A0001C, 0x00023B1C
.long 0x7E3C151E
.long 0x7E3E151F
.long 0xD2A0001D, 0x00023F1E
.long 0x8E4A8124
.long 0x80104A10
.long 0x82118011
.long 0xE0741000, 0x80041C09
.long 0xD0CC0034, 0x00010042
.long 0xD1000014, 0x00D228F2
.long 0xD1000015, 0x00D22AF2
.long 0xD3B14020, 0x18024114
.long 0xD0CC0034, 0x00010042
.long 0xD1000016, 0x00D22CF2
.long 0xD1000017, 0x00D22EF2
.long 0xD3B14022, 0x18024516
.long 0xD3B24004, 0x18024110
.long 0xD3B24006, 0x18024512
.long 0xBEC81E3E
.long 0x7E400304
.long 0x7E420305
.long 0x7E440306
.long 0x7E460307
.long 0x7E401520
.long 0x7E421521
.long 0xD2A00020, 0x00024320
.long 0x7E441522
.long 0x7E461523
.long 0xD2A00021, 0x00024722
.long 0x8E4A8124
.long 0x80104A10
.long 0x82118011
.long 0xE0741000, 0x80042009
.long 0xD0CC0034, 0x00010042
.long 0xD1000014, 0x00D228F2
.long 0xD1000015, 0x00D22AF2
.long 0xD3B14024, 0x18024914
.long 0xD0CC0034, 0x00010042
.long 0xD1000016, 0x00D22CF2
.long 0xD1000017, 0x00D22EF2
.long 0xD3B14026, 0x18024D16
.long 0xD3B24004, 0x18024910
.long 0xD3B24006, 0x18024D12
	;; [unrolled: 25-line block ×14, first 2 shown]
.long 0xBEC81E3E
.long 0x7EA80304
	;; [unrolled: 1-line block ×7, first 2 shown]
.long 0xD2A00054, 0x0002AB54
.long 0x7EAC1556
.long 0x7EAE1557
.long 0xD2A00055, 0x0002AF56
.long 0x8E4A8124
.long 0x80104A10
	;; [unrolled: 1-line block ×3, first 2 shown]
.long 0xE0741000, 0x80045409
.long 0xBF800000
.long 0x924A02FF, 0x00000100
.long 0xD135000B, 0x00009500
.long 0x24161682
.long 0xD9FE0000, 0x1000000B
.long 0xE05C1000, 0x8010140C
	;; [unrolled: 1-line block ×66, first 2 shown]
.long 0xBF800001
.long 0x0A30302C
	;; [unrolled: 1-line block ×66, first 2 shown]
.long 0xD0CC0034, 0x00010042
.long 0xD1000014, 0x00D228F2
.long 0xD1000015, 0x00D22AF2
.long 0xD3B14018, 0x18023114
.long 0xD0CC0034, 0x00010042
.long 0xD1000016, 0x00D22CF2
.long 0xD1000017, 0x00D22EF2
.long 0xD3B1401A, 0x18023516
.long 0xD3B24004, 0x18023110
.long 0xD3B24006, 0x18023512
.long 0xBEC81E3E
.long 0x7E300304
.long 0x7E320305
.long 0x7E340306
.long 0x7E360307
.long 0x7E301518
.long 0x7E321519
.long 0xD2A00018, 0x00023318
.long 0x7E34151A
.long 0x7E36151B
.long 0xD2A00019, 0x0002371A
.long 0x924A9A24
.long 0x80104A10
.long 0x82118011
.long 0xE0741000, 0x80041809
.long 0xD0CC0034, 0x00010042
.long 0xD1000014, 0x00D228F2
.long 0xD1000015, 0x00D22AF2
.long 0xD3B1401C, 0x18023914
.long 0xD0CC0034, 0x00010042
.long 0xD1000016, 0x00D22CF2
.long 0xD1000017, 0x00D22EF2
.long 0xD3B1401E, 0x18023D16
.long 0xD3B24004, 0x18023910
.long 0xD3B24006, 0x18023D12
.long 0xBEC81E3E
.long 0x7E380304
.long 0x7E3A0305
.long 0x7E3C0306
.long 0x7E3E0307
.long 0x7E38151C
.long 0x7E3A151D
.long 0xD2A0001C, 0x00023B1C
.long 0x7E3C151E
.long 0x7E3E151F
.long 0xD2A0001D, 0x00023F1E
.long 0x8E4A8124
.long 0x80104A10
.long 0x82118011
.long 0xE0741000, 0x80041C09
	;; [unrolled: 25-line block ×16, first 2 shown]
.long 0xBF800000
.long 0x924A02FF, 0x00000100
.long 0xD135000B, 0x00009500
.long 0x24161682
.long 0xD9FE0000, 0x1000000B
.long 0xE05C1000, 0x8010140C
	;; [unrolled: 1-line block ×66, first 2 shown]
.long 0xBF800001
.long 0x0A30302C
	;; [unrolled: 1-line block ×66, first 2 shown]
.long 0xD0CC0034, 0x00010042
.long 0xD1000014, 0x00D228F2
.long 0xD1000015, 0x00D22AF2
.long 0xD3B14018, 0x18023114
.long 0xD0CC0034, 0x00010042
.long 0xD1000016, 0x00D22CF2
.long 0xD1000017, 0x00D22EF2
.long 0xD3B1401A, 0x18023516
.long 0xD3B24004, 0x18023110
.long 0xD3B24006, 0x18023512
.long 0xBEC81E3E
.long 0x7E300304
.long 0x7E320305
.long 0x7E340306
.long 0x7E360307
.long 0x7E301518
.long 0x7E321519
.long 0xD2A00018, 0x00023318
.long 0x7E34151A
.long 0x7E36151B
.long 0xD2A00019, 0x0002371A
.long 0x924A9A24
.long 0x80104A10
.long 0x82118011
.long 0xE0741000, 0x80041809
.long 0xD0CC0034, 0x00010042
.long 0xD1000014, 0x00D228F2
.long 0xD1000015, 0x00D22AF2
.long 0xD3B1401C, 0x18023914
.long 0xD0CC0034, 0x00010042
.long 0xD1000016, 0x00D22CF2
.long 0xD1000017, 0x00D22EF2
.long 0xD3B1401E, 0x18023D16
.long 0xD3B24004, 0x18023910
.long 0xD3B24006, 0x18023D12
.long 0xBEC81E3E
.long 0x7E380304
.long 0x7E3A0305
.long 0x7E3C0306
.long 0x7E3E0307
.long 0x7E38151C
.long 0x7E3A151D
.long 0xD2A0001C, 0x00023B1C
.long 0x7E3C151E
.long 0x7E3E151F
.long 0xD2A0001D, 0x00023F1E
.long 0x8E4A8124
.long 0x80104A10
.long 0x82118011
.long 0xE0741000, 0x80041C09
	;; [unrolled: 25-line block ×16, first 2 shown]
.long 0xBF800000
.long 0x924A02FF, 0x00000100
.long 0xD135000B, 0x00009500
.long 0x24161682
.long 0xD9FE0000, 0x1000000B
.long 0xE05C1000, 0x8010140C
	;; [unrolled: 1-line block ×34, first 2 shown]
.long 0xBF800001
.long 0x0A30302C
	;; [unrolled: 1-line block ×34, first 2 shown]
.long 0xD0CC0034, 0x00010042
.long 0xD1000014, 0x00D228F2
.long 0xD1000015, 0x00D22AF2
.long 0xD3B14018, 0x18023114
.long 0xD0CC0034, 0x00010042
.long 0xD1000016, 0x00D22CF2
.long 0xD1000017, 0x00D22EF2
.long 0xD3B1401A, 0x18023516
.long 0xD3B24004, 0x18023110
.long 0xD3B24006, 0x18023512
.long 0xBEC81E3E
.long 0x7E300304
.long 0x7E320305
.long 0x7E340306
.long 0x7E360307
.long 0x7E301518
.long 0x7E321519
.long 0xD2A00018, 0x00023318
.long 0x7E34151A
.long 0x7E36151B
.long 0xD2A00019, 0x0002371A
.long 0x924A9A24
.long 0x80104A10
.long 0x82118011
.long 0xE0741000, 0x80041809
.long 0xD0CC0034, 0x00010042
.long 0xD1000014, 0x00D228F2
.long 0xD1000015, 0x00D22AF2
.long 0xD3B1401C, 0x18023914
.long 0xD0CC0034, 0x00010042
.long 0xD1000016, 0x00D22CF2
.long 0xD1000017, 0x00D22EF2
.long 0xD3B1401E, 0x18023D16
.long 0xD3B24004, 0x18023910
.long 0xD3B24006, 0x18023D12
.long 0xBEC81E3E
.long 0x7E380304
.long 0x7E3A0305
.long 0x7E3C0306
.long 0x7E3E0307
.long 0x7E38151C
.long 0x7E3A151D
.long 0xD2A0001C, 0x00023B1C
.long 0x7E3C151E
.long 0x7E3E151F
.long 0xD2A0001D, 0x00023F1E
.long 0x8E4A8124
.long 0x80104A10
.long 0x82118011
.long 0xE0741000, 0x80041C09
	;; [unrolled: 25-line block ×8, first 2 shown]
.long 0xBF800000
.long 0xBF823172
.long 0x7EDE02FF, 0x80000000
.long 0xD0C9004A, 0x00003100
	;; [unrolled: 1-line block ×3, first 2 shown]
.long 0x86CE4E4A
.long 0x924A02FF, 0x00000100
.long 0xD135000A, 0x00009500
.long 0x24141482
.long 0xD100000A, 0x013A156F
.long 0xBF8CC07F
.long 0xBF8A0000
.long 0xD9FE0000, 0x0C00000A
.long 0x24160082
.long 0xE05C1000, 0x8010100B
.long 0xD1FE0009, 0x02060103
	;; [unrolled: 1-line block ×8, first 2 shown]
.long 0x86CE4E4A
.long 0x924A02FF, 0x00000100
.long 0xD1350019, 0x00009500
.long 0x24323282
.long 0xD1000019, 0x013A336F
.long 0x24340082
.long 0xD1FE0018, 0x02060103
.long 0xD1000018, 0x013A316F
.long 0xD1196A01, 0x00010301
.long 0xD1340002, 0x00004D02
.long 0xD1340003, 0x00004903
.long 0xD0C9004A, 0x00003100
.long 0xD0C9004E, 0x00003301
.long 0x86CE4E4A
.long 0x924A02FF, 0x00000100
.long 0xD1350020, 0x00009500
.long 0x24404082
.long 0xD1000020, 0x013A416F
.long 0x24420082
.long 0xD1FE001B, 0x02060103
.long 0xD100001B, 0x013A376F
.long 0xD1196A01, 0x00010301
.long 0xD1340002, 0x00004D02
.long 0xD1340003, 0x00004903
.long 0xD0C9004A, 0x00003100
.long 0xD0C9004E, 0x00003301
.long 0x86CE4E4A
.long 0x924A02FF, 0x00000100
.long 0xD1350023, 0x00009500
.long 0x24464682
.long 0xD1000023, 0x013A476F
.long 0x24500082
.long 0xD1FE0022, 0x02060103
.long 0xD1000022, 0x013A456F
.long 0xD1196A01, 0x00011B01
.long 0x924A8D26
.long 0xD1340002, 0x00009502
.long 0x924A8D24
.long 0xD1340003, 0x00009503
.long 0xD0C9004A, 0x00003100
.long 0xD0C9004E, 0x00003301
.long 0x86CE4E4A
.long 0x924A02FF, 0x00000100
.long 0xD135002A, 0x00009500
.long 0x24545482
.long 0xD100002A, 0x013A556F
.long 0x24560082
.long 0xD1FE0029, 0x02060103
.long 0xD1000029, 0x013A536F
.long 0xD1196A01, 0x00010301
.long 0xD1340002, 0x00004D02
.long 0xD1340003, 0x00004903
.long 0xD0C9004A, 0x00003100
.long 0xD0C9004E, 0x00003301
.long 0x86CE4E4A
.long 0x924A02FF, 0x00000100
.long 0xD1350035, 0x00009500
.long 0x246A6A82
.long 0xD1000035, 0x013A6B6F
.long 0x246C0082
.long 0xD1FE0034, 0x02060103
.long 0xD1000034, 0x013A696F
.long 0xD1196A01, 0x00010301
.long 0xD1340002, 0x00004D02
.long 0xD1340003, 0x00004903
.long 0xD0C9004A, 0x00003100
.long 0xD0C9004E, 0x00003301
.long 0x86CE4E4A
.long 0x924A02FF, 0x00000100
.long 0xD135003C, 0x00009500
.long 0x24787882
.long 0xD100003C, 0x013A796F
.long 0x247A0082
.long 0xD1FE0037, 0x02060103
.long 0xD1000037, 0x013A6F6F
.long 0xD1196A01, 0x00010301
.long 0xD1340002, 0x00004D02
.long 0xD1340003, 0x00004903
.long 0xD0C9004A, 0x00003100
.long 0xD0C9004E, 0x00003301
.long 0x86CE4E4A
.long 0x924A02FF, 0x00000100
.long 0xD135003F, 0x00009500
.long 0x247E7E82
.long 0xD100003F, 0x013A7F6F
.long 0x24880082
.long 0xD1FE003E, 0x02060103
.long 0xD100003E, 0x013A7D6F
.long 0xD1196A01, 0x00011B01
.long 0x924A8D26
.long 0xD1340002, 0x00009502
.long 0x924A8D24
.long 0xD1340003, 0x00009503
.long 0xD0C9004A, 0x00003100
.long 0xD0C9004E, 0x00003301
.long 0x86CE4E4A
.long 0x924A02FF, 0x00000100
.long 0xD1350046, 0x00009500
.long 0x248C8C82
.long 0xD1000046, 0x013A8D6F
.long 0x248E0082
.long 0xD1FE0045, 0x02060103
.long 0xD1000045, 0x013A8B6F
.long 0xD1196A01, 0x00010301
.long 0xD1340002, 0x00004D02
.long 0xD1340003, 0x00004903
.long 0xD0C9004A, 0x00003100
.long 0xD0C9004E, 0x00003301
	;; [unrolled: 54-line block ×3, first 2 shown]
.long 0x86CE4E4A
.long 0x924A02FF, 0x00000100
.long 0xD135006D, 0x00009500
.long 0x24DADA82
.long 0xD100006D, 0x013ADB6F
.long 0x24DC0082
.long 0xD1FE006C, 0x02060103
.long 0xD100006C, 0x013AD96F
	;; [unrolled: 1-line block ×58, first 2 shown]
.long 0xBF800001
.long 0x0A28282C
	;; [unrolled: 1-line block ×58, first 2 shown]
.long 0xD0CC0034, 0x00010042
.long 0xD1000010, 0x00D220F2
.long 0xD1000011, 0x00D222F2
.long 0xD3B14014, 0x18022910
.long 0xD0CC0034, 0x00010042
.long 0xD1000012, 0x00D224F2
.long 0xD1000013, 0x00D226F2
.long 0xD3B14016, 0x18022D12
.long 0xD3B24004, 0x1802290C
.long 0xD3B24006, 0x18022D0E
.long 0xBEC81E3E
.long 0x7E280304
.long 0x7E2A0305
.long 0x7E2C0306
.long 0x7E2E0307
.long 0x7E281514
.long 0x7E2A1515
.long 0xD2A00014, 0x00022B14
.long 0x7E2C1516
.long 0x7E2E1517
.long 0xD2A00015, 0x00022F16
.long 0xE0741000, 0x80041409
.long 0xD0CC0034, 0x00010042
.long 0xD1000010, 0x00D220F2
.long 0xD1000011, 0x00D222F2
.long 0xD3B1401C, 0x18023910
.long 0xD0CC0034, 0x00010042
.long 0xD1000012, 0x00D224F2
.long 0xD1000013, 0x00D226F2
.long 0xD3B1401E, 0x18023D12
.long 0xD3B24004, 0x1802390C
.long 0xD3B24006, 0x18023D0E
.long 0xBEC81E3E
.long 0x7E380304
.long 0x7E3A0305
.long 0x7E3C0306
.long 0x7E3E0307
.long 0x7E38151C
.long 0x7E3A151D
.long 0xD2A0001C, 0x00023B1C
.long 0x7E3C151E
.long 0x7E3E151F
.long 0xD2A0001D, 0x00023F1E
.long 0xE0741000, 0x80041C18
	;; [unrolled: 22-line block ×14, first 2 shown]
.long 0xBF800000
.long 0x7EDE02FF, 0x80000000
.long 0xD1196A01, 0x00010301
	;; [unrolled: 1-line block ×6, first 2 shown]
.long 0x86CE4E4A
.long 0x924A02FF, 0x00000100
.long 0xD135000A, 0x00009500
.long 0x24141482
.long 0xD100000A, 0x013A156F
.long 0xD9FE0000, 0x0C00000A
	;; [unrolled: 3-line block ×3, first 2 shown]
.long 0xD1000009, 0x013A136F
.long 0xD1196A01, 0x00010301
.long 0xD1340002, 0x00004D02
.long 0xD1340003, 0x00004903
.long 0xD0C9004A, 0x00003100
.long 0xD0C9004E, 0x00003301
.long 0x86CE4E4A
.long 0x924A02FF, 0x00000100
.long 0xD1350019, 0x00009500
.long 0x24323282
.long 0xD1000019, 0x013A336F
.long 0x24340082
.long 0xD1FE0018, 0x02060103
.long 0xD1000018, 0x013A316F
.long 0xD1196A01, 0x00011B01
.long 0x924A8D26
.long 0xD1340002, 0x00009502
.long 0x924A8D24
.long 0xD1340003, 0x00009503
.long 0xD0C9004A, 0x00003100
.long 0xD0C9004E, 0x00003301
.long 0x86CE4E4A
.long 0x924A02FF, 0x00000100
.long 0xD1350020, 0x00009500
.long 0x24404082
.long 0xD1000020, 0x013A416F
.long 0x24420082
.long 0xD1FE001B, 0x02060103
.long 0xD100001B, 0x013A376F
.long 0xD1196A01, 0x00010301
.long 0xD1340002, 0x00004D02
.long 0xD1340003, 0x00004903
.long 0xD0C9004A, 0x00003100
.long 0xD0C9004E, 0x00003301
.long 0x86CE4E4A
.long 0x924A02FF, 0x00000100
.long 0xD1350023, 0x00009500
.long 0x24464682
.long 0xD1000023, 0x013A476F
.long 0x24500082
.long 0xD1FE0022, 0x02060103
.long 0xD1000022, 0x013A456F
.long 0xD1196A01, 0x00010301
.long 0xD1340002, 0x00004D02
.long 0xD1340003, 0x00004903
.long 0xD0C9004A, 0x00003100
.long 0xD0C9004E, 0x00003301
.long 0x86CE4E4A
.long 0x924A02FF, 0x00000100
.long 0xD135002A, 0x00009500
.long 0x24545482
.long 0xD100002A, 0x013A556F
.long 0x24560082
.long 0xD1FE0029, 0x02060103
.long 0xD1000029, 0x013A536F
.long 0xD1196A01, 0x00010301
.long 0xD1340002, 0x00004D02
.long 0xD1340003, 0x00004903
.long 0xD0C9004A, 0x00003100
.long 0xD0C9004E, 0x00003301
.long 0x86CE4E4A
.long 0x924A02FF, 0x00000100
.long 0xD1350035, 0x00009500
.long 0x246A6A82
.long 0xD1000035, 0x013A6B6F
.long 0x246C0082
.long 0xD1FE0034, 0x02060103
.long 0xD1000034, 0x013A696F
.long 0xD1196A01, 0x00011B01
.long 0x924A8D26
.long 0xD1340002, 0x00009502
.long 0x924A8D24
.long 0xD1340003, 0x00009503
.long 0xD0C9004A, 0x00003100
.long 0xD0C9004E, 0x00003301
.long 0x86CE4E4A
.long 0x924A02FF, 0x00000100
.long 0xD135003C, 0x00009500
.long 0x24787882
.long 0xD100003C, 0x013A796F
.long 0x247A0082
.long 0xD1FE0037, 0x02060103
.long 0xD1000037, 0x013A6F6F
.long 0xD1196A01, 0x00010301
.long 0xD1340002, 0x00004D02
.long 0xD1340003, 0x00004903
.long 0xD0C9004A, 0x00003100
.long 0xD0C9004E, 0x00003301
.long 0x86CE4E4A
.long 0x924A02FF, 0x00000100
.long 0xD135003F, 0x00009500
.long 0x247E7E82
.long 0xD100003F, 0x013A7F6F
.long 0x24880082
.long 0xD1FE003E, 0x02060103
.long 0xD100003E, 0x013A7D6F
.long 0xD1196A01, 0x00010301
.long 0xD1340002, 0x00004D02
.long 0xD1340003, 0x00004903
.long 0xD0C9004A, 0x00003100
.long 0xD0C9004E, 0x00003301
.long 0x86CE4E4A
.long 0x924A02FF, 0x00000100
.long 0xD1350046, 0x00009500
.long 0x248C8C82
.long 0xD1000046, 0x013A8D6F
.long 0x248E0082
.long 0xD1FE0045, 0x02060103
	;; [unrolled: 54-line block ×3, first 2 shown]
.long 0xD1000061, 0x013AC36F
.long 0xD1196A01, 0x00010301
	;; [unrolled: 1-line block ×6, first 2 shown]
.long 0x86CE4E4A
.long 0x924A02FF, 0x00000100
.long 0xD135006D, 0x00009500
.long 0x24DADA82
.long 0xD100006D, 0x013ADB6F
.long 0x24DC0082
.long 0xD1FE006C, 0x02060103
.long 0xD100006C, 0x013AD96F
	;; [unrolled: 1-line block ×58, first 2 shown]
.long 0xBF800001
.long 0x0A28282C
	;; [unrolled: 1-line block ×58, first 2 shown]
.long 0xD0CC0034, 0x00010042
.long 0xD1000010, 0x00D220F2
.long 0xD1000011, 0x00D222F2
.long 0xD3B14014, 0x18022910
.long 0xD0CC0034, 0x00010042
.long 0xD1000012, 0x00D224F2
.long 0xD1000013, 0x00D226F2
.long 0xD3B14016, 0x18022D12
.long 0xD3B24004, 0x1802290C
.long 0xD3B24006, 0x18022D0E
.long 0xBEC81E3E
.long 0x7E280304
.long 0x7E2A0305
.long 0x7E2C0306
.long 0x7E2E0307
.long 0x7E281514
.long 0x7E2A1515
.long 0xD2A00014, 0x00022B14
.long 0x7E2C1516
.long 0x7E2E1517
.long 0xD2A00015, 0x00022F16
.long 0xE0741000, 0x80041409
.long 0xD0CC0034, 0x00010042
.long 0xD1000010, 0x00D220F2
.long 0xD1000011, 0x00D222F2
.long 0xD3B1401C, 0x18023910
.long 0xD0CC0034, 0x00010042
.long 0xD1000012, 0x00D224F2
.long 0xD1000013, 0x00D226F2
.long 0xD3B1401E, 0x18023D12
.long 0xD3B24004, 0x1802390C
.long 0xD3B24006, 0x18023D0E
.long 0xBEC81E3E
.long 0x7E380304
.long 0x7E3A0305
.long 0x7E3C0306
.long 0x7E3E0307
.long 0x7E38151C
.long 0x7E3A151D
.long 0xD2A0001C, 0x00023B1C
.long 0x7E3C151E
.long 0x7E3E151F
.long 0xD2A0001D, 0x00023F1E
.long 0xE0741000, 0x80041C18
	;; [unrolled: 22-line block ×14, first 2 shown]
.long 0xBF800000
.long 0x7EDE02FF, 0x80000000
.long 0xD1196A01, 0x00011B01
.long 0x924A8D26
.long 0xD1340002, 0x00009502
.long 0x924A8D24
.long 0xD1340003, 0x00009503
.long 0xD0C9004A, 0x00003100
	;; [unrolled: 1-line block ×3, first 2 shown]
.long 0x86CE4E4A
.long 0x924A02FF, 0x00000100
.long 0xD135000A, 0x00009500
.long 0x24141482
.long 0xD100000A, 0x013A156F
.long 0xD9FE0000, 0x0C00000A
	;; [unrolled: 3-line block ×3, first 2 shown]
.long 0xD1000009, 0x013A136F
.long 0xD1196A01, 0x00010301
.long 0xD1340002, 0x00004D02
.long 0xD1340003, 0x00004903
.long 0xD0C9004A, 0x00003100
.long 0xD0C9004E, 0x00003301
.long 0x86CE4E4A
.long 0x924A02FF, 0x00000100
.long 0xD1350019, 0x00009500
.long 0x24323282
.long 0xD1000019, 0x013A336F
.long 0x24340082
.long 0xD1FE0018, 0x02060103
.long 0xD1000018, 0x013A316F
.long 0xD1196A01, 0x00010301
.long 0xD1340002, 0x00004D02
.long 0xD1340003, 0x00004903
.long 0xD0C9004A, 0x00003100
.long 0xD0C9004E, 0x00003301
.long 0x86CE4E4A
.long 0x924A02FF, 0x00000100
.long 0xD1350020, 0x00009500
.long 0x24404082
.long 0xD1000020, 0x013A416F
.long 0x24420082
.long 0xD1FE001B, 0x02060103
.long 0xD100001B, 0x013A376F
.long 0xD1196A01, 0x00010301
.long 0xD1340002, 0x00004D02
.long 0xD1340003, 0x00004903
.long 0xD0C9004A, 0x00003100
.long 0xD0C9004E, 0x00003301
.long 0x86CE4E4A
.long 0x924A02FF, 0x00000100
.long 0xD1350023, 0x00009500
.long 0x24464682
.long 0xD1000023, 0x013A476F
.long 0x24500082
.long 0xD1FE0022, 0x02060103
.long 0xD1000022, 0x013A456F
.long 0xD1196A01, 0x00011B01
.long 0x924A8D26
.long 0xD1340002, 0x00009502
.long 0x924A8D24
.long 0xD1340003, 0x00009503
.long 0xD0C9004A, 0x00003100
.long 0xD0C9004E, 0x00003301
.long 0x86CE4E4A
.long 0x924A02FF, 0x00000100
.long 0xD135002A, 0x00009500
.long 0x24545482
.long 0xD100002A, 0x013A556F
.long 0x24560082
.long 0xD1FE0029, 0x02060103
.long 0xD1000029, 0x013A536F
.long 0xD1196A01, 0x00010301
.long 0xD1340002, 0x00004D02
.long 0xD1340003, 0x00004903
.long 0xD0C9004A, 0x00003100
.long 0xD0C9004E, 0x00003301
.long 0x86CE4E4A
.long 0x924A02FF, 0x00000100
.long 0xD1350035, 0x00009500
.long 0x246A6A82
.long 0xD1000035, 0x013A6B6F
.long 0x246C0082
.long 0xD1FE0034, 0x02060103
.long 0xD1000034, 0x013A696F
.long 0xD1196A01, 0x00010301
.long 0xD1340002, 0x00004D02
.long 0xD1340003, 0x00004903
.long 0xD0C9004A, 0x00003100
.long 0xD0C9004E, 0x00003301
.long 0x86CE4E4A
.long 0x924A02FF, 0x00000100
.long 0xD135003C, 0x00009500
.long 0x24787882
.long 0xD100003C, 0x013A796F
.long 0x247A0082
.long 0xD1FE0037, 0x02060103
.long 0xD1000037, 0x013A6F6F
.long 0xD1196A01, 0x00010301
.long 0xD1340002, 0x00004D02
.long 0xD1340003, 0x00004903
.long 0xD0C9004A, 0x00003100
.long 0xD0C9004E, 0x00003301
.long 0x86CE4E4A
.long 0x924A02FF, 0x00000100
.long 0xD135003F, 0x00009500
.long 0x247E7E82
.long 0xD100003F, 0x013A7F6F
.long 0x24880082
.long 0xD1FE003E, 0x02060103
.long 0xD100003E, 0x013A7D6F
.long 0xD1196A01, 0x00011B01
.long 0x924A8D26
.long 0xD1340002, 0x00009502
.long 0x924A8D24
.long 0xD1340003, 0x00009503
.long 0xD0C9004A, 0x00003100
.long 0xD0C9004E, 0x00003301
.long 0x86CE4E4A
.long 0x924A02FF, 0x00000100
.long 0xD1350046, 0x00009500
.long 0x248C8C82
.long 0xD1000046, 0x013A8D6F
.long 0x248E0082
.long 0xD1FE0045, 0x02060103
.long 0xD1000045, 0x013A8B6F
.long 0xD1196A01, 0x00010301
.long 0xD1340002, 0x00004D02
.long 0xD1340003, 0x00004903
.long 0xD0C9004A, 0x00003100
.long 0xD0C9004E, 0x00003301
.long 0x86CE4E4A
.long 0x924A02FF, 0x00000100
.long 0xD1350051, 0x00009500
.long 0x24A2A282
.long 0xD1000051, 0x013AA36F
.long 0x24A40082
.long 0xD1FE0050, 0x02060103
.long 0xD1000050, 0x013AA16F
.long 0xD1196A01, 0x00010301
.long 0xD1340002, 0x00004D02
.long 0xD1340003, 0x00004903
.long 0xD0C9004A, 0x00003100
.long 0xD0C9004E, 0x00003301
.long 0x86CE4E4A
.long 0x924A02FF, 0x00000100
.long 0xD1350058, 0x00009500
.long 0x24B0B082
.long 0xD1000058, 0x013AB16F
.long 0x24B20082
.long 0xD1FE0053, 0x02060103
.long 0xD1000053, 0x013AA76F
.long 0xD1196A01, 0x00010301
.long 0xD1340002, 0x00004D02
.long 0xD1340003, 0x00004903
.long 0xD0C9004A, 0x00003100
.long 0xD0C9004E, 0x00003301
.long 0x86CE4E4A
.long 0x924A02FF, 0x00000100
.long 0xD135005B, 0x00009500
.long 0x24B6B682
.long 0xD100005B, 0x013AB76F
.long 0x24C00082
.long 0xD1FE005A, 0x02060103
.long 0xD100005A, 0x013AB56F
.long 0xD1196A01, 0x00011B01
.long 0x924A8D26
.long 0xD1340002, 0x00009502
.long 0x924A8D24
.long 0xD1340003, 0x00009503
.long 0xD0C9004A, 0x00003100
.long 0xD0C9004E, 0x00003301
.long 0x86CE4E4A
.long 0x924A02FF, 0x00000100
.long 0xD1350062, 0x00009500
.long 0x24C4C482
.long 0xD1000062, 0x013AC56F
.long 0x24C60082
.long 0xD1FE0061, 0x02060103
.long 0xD1000061, 0x013AC36F
.long 0xD1196A01, 0x00010301
	;; [unrolled: 1-line block ×6, first 2 shown]
.long 0x86CE4E4A
.long 0x924A02FF, 0x00000100
.long 0xD135006D, 0x00009500
.long 0x24DADA82
.long 0xD100006D, 0x013ADB6F
.long 0x24DC0082
.long 0xD1FE006C, 0x02060103
.long 0xD100006C, 0x013AD96F
	;; [unrolled: 1-line block ×58, first 2 shown]
.long 0xBF800001
.long 0x0A28282C
	;; [unrolled: 1-line block ×58, first 2 shown]
.long 0xD0CC0034, 0x00010042
.long 0xD1000010, 0x00D220F2
.long 0xD1000011, 0x00D222F2
.long 0xD3B14014, 0x18022910
.long 0xD0CC0034, 0x00010042
.long 0xD1000012, 0x00D224F2
.long 0xD1000013, 0x00D226F2
.long 0xD3B14016, 0x18022D12
.long 0xD3B24004, 0x1802290C
.long 0xD3B24006, 0x18022D0E
.long 0xBEC81E3E
.long 0x7E280304
.long 0x7E2A0305
.long 0x7E2C0306
.long 0x7E2E0307
.long 0x7E281514
.long 0x7E2A1515
.long 0xD2A00014, 0x00022B14
.long 0x7E2C1516
.long 0x7E2E1517
.long 0xD2A00015, 0x00022F16
.long 0xE0741000, 0x80041409
.long 0xD0CC0034, 0x00010042
.long 0xD1000010, 0x00D220F2
.long 0xD1000011, 0x00D222F2
.long 0xD3B1401C, 0x18023910
.long 0xD0CC0034, 0x00010042
.long 0xD1000012, 0x00D224F2
.long 0xD1000013, 0x00D226F2
.long 0xD3B1401E, 0x18023D12
.long 0xD3B24004, 0x1802390C
.long 0xD3B24006, 0x18023D0E
.long 0xBEC81E3E
.long 0x7E380304
.long 0x7E3A0305
.long 0x7E3C0306
.long 0x7E3E0307
.long 0x7E38151C
.long 0x7E3A151D
.long 0xD2A0001C, 0x00023B1C
.long 0x7E3C151E
.long 0x7E3E151F
.long 0xD2A0001D, 0x00023F1E
.long 0xE0741000, 0x80041C18
	;; [unrolled: 22-line block ×14, first 2 shown]
.long 0xBF800000
.long 0x7EDE02FF, 0x80000000
.long 0xD1196A01, 0x00010301
.long 0xD1340002, 0x00004D02
.long 0xD1340003, 0x00004903
.long 0xD0C9004A, 0x00003100
.long 0xD0C9004E, 0x00003301
.long 0x86CE4E4A
.long 0x924A02FF, 0x00000100
.long 0xD135000A, 0x00009500
.long 0x24141482
.long 0xD100000A, 0x013A156F
.long 0xD9FE0000, 0x0C00000A
	;; [unrolled: 3-line block ×3, first 2 shown]
.long 0xD1000009, 0x013A136F
.long 0xD1196A01, 0x00010301
.long 0xD1340002, 0x00004D02
.long 0xD1340003, 0x00004903
.long 0xD0C9004A, 0x00003100
.long 0xD0C9004E, 0x00003301
.long 0x86CE4E4A
.long 0x924A02FF, 0x00000100
.long 0xD1350019, 0x00009500
.long 0x24323282
.long 0xD1000019, 0x013A336F
.long 0x24340082
.long 0xD1FE0018, 0x02060103
.long 0xD1000018, 0x013A316F
.long 0xD1196A01, 0x00011B01
.long 0x924A8D26
.long 0xD1340002, 0x00009502
.long 0x924A8D24
.long 0xD1340003, 0x00009503
.long 0xD0C9004A, 0x00003100
.long 0xD0C9004E, 0x00003301
.long 0x86CE4E4A
.long 0x924A02FF, 0x00000100
.long 0xD1350020, 0x00009500
.long 0x24404082
.long 0xD1000020, 0x013A416F
.long 0x24420082
.long 0xD1FE001B, 0x02060103
.long 0xD100001B, 0x013A376F
.long 0xD1196A01, 0x00010301
.long 0xD1340002, 0x00004D02
.long 0xD1340003, 0x00004903
.long 0xD0C9004A, 0x00003100
.long 0xD0C9004E, 0x00003301
.long 0x86CE4E4A
.long 0x924A02FF, 0x00000100
.long 0xD1350023, 0x00009500
.long 0x24464682
.long 0xD1000023, 0x013A476F
.long 0x24500082
.long 0xD1FE0022, 0x02060103
.long 0xD1000022, 0x013A456F
.long 0xD1196A01, 0x00010301
.long 0xD1340002, 0x00004D02
.long 0xD1340003, 0x00004903
.long 0xD0C9004A, 0x00003100
.long 0xD0C9004E, 0x00003301
.long 0x86CE4E4A
.long 0x924A02FF, 0x00000100
.long 0xD135002A, 0x00009500
.long 0x24545482
.long 0xD100002A, 0x013A556F
.long 0x24560082
.long 0xD1FE0029, 0x02060103
.long 0xD1000029, 0x013A536F
.long 0xD1196A01, 0x00010301
.long 0xD1340002, 0x00004D02
.long 0xD1340003, 0x00004903
.long 0xD0C9004A, 0x00003100
.long 0xD0C9004E, 0x00003301
.long 0x86CE4E4A
.long 0x924A02FF, 0x00000100
.long 0xD1350035, 0x00009500
.long 0x246A6A82
.long 0xD1000035, 0x013A6B6F
.long 0x246C0082
.long 0xD1FE0034, 0x02060103
.long 0xD1000034, 0x013A696F
.long 0xD1196A01, 0x00011B01
.long 0x924A8D26
.long 0xD1340002, 0x00009502
.long 0x924A8D24
.long 0xD1340003, 0x00009503
.long 0xD0C9004A, 0x00003100
.long 0xD0C9004E, 0x00003301
.long 0x86CE4E4A
.long 0x924A02FF, 0x00000100
.long 0xD135003C, 0x00009500
.long 0x24787882
.long 0xD100003C, 0x013A796F
.long 0x247A0082
.long 0xD1FE0037, 0x02060103
.long 0xD1000037, 0x013A6F6F
.long 0xD1196A01, 0x00010301
.long 0xD1340002, 0x00004D02
.long 0xD1340003, 0x00004903
.long 0xD0C9004A, 0x00003100
.long 0xD0C9004E, 0x00003301
.long 0x86CE4E4A
.long 0x924A02FF, 0x00000100
.long 0xD135003F, 0x00009500
.long 0x247E7E82
.long 0xD100003F, 0x013A7F6F
.long 0x24880082
.long 0xD1FE003E, 0x02060103
.long 0xD100003E, 0x013A7D6F
.long 0xD1196A01, 0x00010301
.long 0xD1340002, 0x00004D02
.long 0xD1340003, 0x00004903
.long 0xD0C9004A, 0x00003100
.long 0xD0C9004E, 0x00003301
.long 0x86CE4E4A
.long 0x924A02FF, 0x00000100
.long 0xD1350046, 0x00009500
.long 0x248C8C82
.long 0xD1000046, 0x013A8D6F
.long 0x248E0082
.long 0xD1FE0045, 0x02060103
	;; [unrolled: 54-line block ×3, first 2 shown]
.long 0xD1000061, 0x013AC36F
.long 0xD1196A01, 0x00010301
	;; [unrolled: 1-line block ×6, first 2 shown]
.long 0x86CE4E4A
.long 0x924A02FF, 0x00000100
.long 0xD135006D, 0x00009500
.long 0x24DADA82
.long 0xD100006D, 0x013ADB6F
.long 0x24DC0082
.long 0xD1FE006C, 0x02060103
.long 0xD100006C, 0x013AD96F
	;; [unrolled: 1-line block ×58, first 2 shown]
.long 0xBF800001
.long 0x0A28282C
	;; [unrolled: 1-line block ×58, first 2 shown]
.long 0xD0CC0034, 0x00010042
.long 0xD1000010, 0x00D220F2
.long 0xD1000011, 0x00D222F2
.long 0xD3B14014, 0x18022910
.long 0xD0CC0034, 0x00010042
.long 0xD1000012, 0x00D224F2
.long 0xD1000013, 0x00D226F2
.long 0xD3B14016, 0x18022D12
.long 0xD3B24004, 0x1802290C
.long 0xD3B24006, 0x18022D0E
.long 0xBEC81E3E
.long 0x7E280304
.long 0x7E2A0305
.long 0x7E2C0306
.long 0x7E2E0307
.long 0x7E281514
.long 0x7E2A1515
.long 0xD2A00014, 0x00022B14
.long 0x7E2C1516
.long 0x7E2E1517
.long 0xD2A00015, 0x00022F16
.long 0xE0741000, 0x80041409
.long 0xD0CC0034, 0x00010042
.long 0xD1000010, 0x00D220F2
.long 0xD1000011, 0x00D222F2
.long 0xD3B1401C, 0x18023910
.long 0xD0CC0034, 0x00010042
.long 0xD1000012, 0x00D224F2
.long 0xD1000013, 0x00D226F2
.long 0xD3B1401E, 0x18023D12
.long 0xD3B24004, 0x1802390C
.long 0xD3B24006, 0x18023D0E
.long 0xBEC81E3E
.long 0x7E380304
.long 0x7E3A0305
.long 0x7E3C0306
.long 0x7E3E0307
.long 0x7E38151C
.long 0x7E3A151D
.long 0xD2A0001C, 0x00023B1C
.long 0x7E3C151E
.long 0x7E3E151F
.long 0xD2A0001D, 0x00023F1E
.long 0xE0741000, 0x80041C18
	;; [unrolled: 22-line block ×14, first 2 shown]
.long 0xBF800000
.long 0xBF8221E7
.long 0x864A18FF, 0x000000FF
.long 0x804B0DC1
.long 0xBF094B02
	;; [unrolled: 1-line block ×6, first 2 shown]
.long 0x924C19FF, 0x00000249
.long 0x8ECC904C
.long 0x924BFF19, 0x00002493
.long 0x804C4C4B
.long 0x824D804D
	;; [unrolled: 1-line block ×4, first 2 shown]
.long 0x924CFF4B, 0x000000E0
.long 0x80CA4C19
.long 0x804B0EC1
.long 0xBF094B03
.long 0x854A804A
.long 0xB54A0000
.long 0xBF850E2E
.long 0xD1FE000A, 0x02060102
.long 0xE0541000, 0x80050E0A
	;; [unrolled: 1-line block ×4, first 2 shown]
.long 0x24161682
.long 0xBF8CC07F
	;; [unrolled: 1-line block ×3, first 2 shown]
.long 0xD9FE0000, 0x1000000B
.long 0x24180082
.long 0xE05C1000, 0x8010140C
.long 0x8E4A8126
.long 0x80144A14
.long 0x82158015
.long 0xE0541000, 0x80051C0A
.long 0x8E4A8126
.long 0x80144A14
	;; [unrolled: 4-line block ×15, first 2 shown]
.long 0x82158015
.long 0xE0541000, 0x8005700A
.long 0xD1FE0009, 0x02060103
	;; [unrolled: 1-line block ×66, first 2 shown]
.long 0xBF800001
.long 0x0A30302C
	;; [unrolled: 1-line block ×66, first 2 shown]
.long 0xD0CC0034, 0x00010042
.long 0xD1000014, 0x00D228F2
	;; [unrolled: 1-line block ×14, first 2 shown]
.long 0xBEC81E3E
.long 0x7E300304
	;; [unrolled: 1-line block ×7, first 2 shown]
.long 0xD2A00018, 0x00023318
.long 0x7E34151A
.long 0x7E36151B
.long 0xD2A00019, 0x0002371A
.long 0xE0741000, 0x80041809
.long 0xBF8C0F7F
.long 0xD0CC0034, 0x00010042
.long 0xD1000014, 0x00D228F2
.long 0xD1000015, 0x00D22AF2
.long 0xD3B14020, 0x18024114
.long 0xD0CC0034, 0x00010042
.long 0xD1000016, 0x00D22CF2
.long 0xD1000017, 0x00D22EF2
.long 0xD3B14022, 0x18024516
.long 0xD3A00020, 0x1482382D
.long 0xD3A01021, 0x1486382D
.long 0xD3A00022, 0x148A3A2D
.long 0xD3A01023, 0x148E3A2D
.long 0xD3B24004, 0x18024110
.long 0xD3B24006, 0x18024512
.long 0xBEC81E3E
.long 0x7E400304
.long 0x7E420305
.long 0x7E440306
.long 0x7E460307
.long 0x7E401520
.long 0x7E421521
.long 0xD2A00020, 0x00024320
.long 0x7E441522
.long 0x7E461523
.long 0xD2A00021, 0x00024722
.long 0x8E4A8124
.long 0x80104A10
.long 0x82118011
.long 0xE0741000, 0x80042009
.long 0xBF8C0F7F
.long 0xD0CC0034, 0x00010042
.long 0xD1000014, 0x00D228F2
.long 0xD1000015, 0x00D22AF2
.long 0xD3B14024, 0x18024914
.long 0xD0CC0034, 0x00010042
.long 0xD1000016, 0x00D22CF2
.long 0xD1000017, 0x00D22EF2
.long 0xD3B14026, 0x18024D16
.long 0xD3A00024, 0x14923C2D
.long 0xD3A01025, 0x14963C2D
.long 0xD3A00026, 0x149A3E2D
.long 0xD3A01027, 0x149E3E2D
.long 0xD3B24004, 0x18024910
.long 0xD3B24006, 0x18024D12
.long 0xBEC81E3E
.long 0x7E480304
.long 0x7E4A0305
.long 0x7E4C0306
.long 0x7E4E0307
.long 0x7E481524
.long 0x7E4A1525
.long 0xD2A00024, 0x00024B24
.long 0x7E4C1526
.long 0x7E4E1527
.long 0xD2A00025, 0x00024F26
.long 0x8E4A8124
.long 0x80104A10
.long 0x82118011
	;; [unrolled: 30-line block ×15, first 2 shown]
.long 0xE0741000, 0x80047409
.long 0xBF800000
.long 0x924A9A26
	;; [unrolled: 1-line block ×4, first 2 shown]
.long 0xE0541000, 0x80050E0A
.long 0x924A02FF, 0x00000100
.long 0xD135000B, 0x00009500
.long 0x24161682
.long 0xD9FE0000, 0x1000000B
.long 0xE05C1000, 0x8010140C
.long 0x8E4A8126
.long 0x80144A14
.long 0x82158015
.long 0xE0541000, 0x80051C0A
.long 0x8E4A8126
.long 0x80144A14
.long 0x82158015
.long 0xE0541000, 0x80051E0A
.long 0x8E4A8126
.long 0x80144A14
.long 0x82158015
.long 0xE0541000, 0x8005280A
.long 0x924A9A26
.long 0x80144A14
.long 0x82158015
.long 0xE0541000, 0x80052A0A
.long 0x8E4A8126
.long 0x80144A14
.long 0x82158015
.long 0xE0541000, 0x8005340A
.long 0x8E4A8126
.long 0x80144A14
.long 0x82158015
.long 0xE0541000, 0x8005360A
.long 0x8E4A8126
.long 0x80144A14
.long 0x82158015
.long 0xE0541000, 0x8005400A
.long 0x924A9A26
.long 0x80144A14
.long 0x82158015
.long 0xE0541000, 0x8005420A
.long 0x8E4A8126
.long 0x80144A14
.long 0x82158015
.long 0xE0541000, 0x80054C0A
.long 0x8E4A8126
.long 0x80144A14
.long 0x82158015
.long 0xE0541000, 0x80054E0A
.long 0x8E4A8126
.long 0x80144A14
.long 0x82158015
.long 0xE0541000, 0x8005580A
.long 0x924A9A26
.long 0x80144A14
.long 0x82158015
.long 0xE0541000, 0x80055A0A
.long 0x8E4A8126
.long 0x80144A14
.long 0x82158015
.long 0xE0541000, 0x8005640A
.long 0x8E4A8126
.long 0x80144A14
.long 0x82158015
.long 0xE0541000, 0x8005660A
.long 0x8E4A8126
.long 0x80144A14
.long 0x82158015
.long 0xE0541000, 0x8005700A
.long 0xD3D84018, 0x18000140
	;; [unrolled: 1-line block ×65, first 2 shown]
.long 0xBF800001
.long 0x0A30302C
	;; [unrolled: 1-line block ×66, first 2 shown]
.long 0xD0CC0034, 0x00010042
.long 0xD1000014, 0x00D228F2
.long 0xD1000015, 0x00D22AF2
.long 0xD3B14018, 0x18023114
.long 0xD0CC0034, 0x00010042
.long 0xD1000016, 0x00D22CF2
.long 0xD1000017, 0x00D22EF2
.long 0xD3B1401A, 0x18023516
.long 0xD3A00018, 0x14621C2D
.long 0xD3A01019, 0x14661C2D
.long 0xD3A0001A, 0x146A1E2D
.long 0xD3A0101B, 0x146E1E2D
.long 0xD3B24004, 0x18023110
.long 0xD3B24006, 0x18023512
.long 0xBEC81E3E
.long 0x7E300304
.long 0x7E320305
.long 0x7E340306
.long 0x7E360307
.long 0x7E301518
.long 0x7E321519
.long 0xD2A00018, 0x00023318
.long 0x7E34151A
.long 0x7E36151B
.long 0xD2A00019, 0x0002371A
.long 0x924A9A24
.long 0x80104A10
.long 0x82118011
.long 0xE0741000, 0x80041809
.long 0xBF8C0F7F
.long 0xD0CC0034, 0x00010042
.long 0xD1000014, 0x00D228F2
.long 0xD1000015, 0x00D22AF2
.long 0xD3B14020, 0x18024114
.long 0xD0CC0034, 0x00010042
.long 0xD1000016, 0x00D22CF2
.long 0xD1000017, 0x00D22EF2
.long 0xD3B14022, 0x18024516
.long 0xD3A00020, 0x1482382D
.long 0xD3A01021, 0x1486382D
.long 0xD3A00022, 0x148A3A2D
.long 0xD3A01023, 0x148E3A2D
.long 0xD3B24004, 0x18024110
.long 0xD3B24006, 0x18024512
.long 0xBEC81E3E
.long 0x7E400304
.long 0x7E420305
.long 0x7E440306
.long 0x7E460307
.long 0x7E401520
.long 0x7E421521
.long 0xD2A00020, 0x00024320
.long 0x7E441522
.long 0x7E461523
.long 0xD2A00021, 0x00024722
.long 0x8E4A8124
.long 0x80104A10
.long 0x82118011
.long 0xE0741000, 0x80042009
.long 0xBF8C0F7F
	;; [unrolled: 30-line block ×16, first 2 shown]
.long 0x924A9A26
.long 0x80144A14
	;; [unrolled: 1-line block ×3, first 2 shown]
.long 0xE0541000, 0x80050E0A
.long 0x924A02FF, 0x00000100
	;; [unrolled: 1-line block ×3, first 2 shown]
.long 0x24161682
.long 0xD9FE0000, 0x1000000B
.long 0xE05C1000, 0x8010140C
.long 0x8E4A8126
.long 0x80144A14
.long 0x82158015
.long 0xE0541000, 0x80051C0A
.long 0x8E4A8126
.long 0x80144A14
.long 0x82158015
	;; [unrolled: 4-line block ×15, first 2 shown]
.long 0xE0541000, 0x8005700A
.long 0xD3D84018, 0x18000180
	;; [unrolled: 1-line block ×65, first 2 shown]
.long 0xBF800001
.long 0x0A30302C
	;; [unrolled: 1-line block ×66, first 2 shown]
.long 0xD0CC0034, 0x00010042
.long 0xD1000014, 0x00D228F2
.long 0xD1000015, 0x00D22AF2
.long 0xD3B14018, 0x18023114
.long 0xD0CC0034, 0x00010042
.long 0xD1000016, 0x00D22CF2
.long 0xD1000017, 0x00D22EF2
.long 0xD3B1401A, 0x18023516
.long 0xD3A00018, 0x14621C2D
.long 0xD3A01019, 0x14661C2D
.long 0xD3A0001A, 0x146A1E2D
.long 0xD3A0101B, 0x146E1E2D
.long 0xD3B24004, 0x18023110
.long 0xD3B24006, 0x18023512
.long 0xBEC81E3E
.long 0x7E300304
.long 0x7E320305
.long 0x7E340306
.long 0x7E360307
.long 0x7E301518
.long 0x7E321519
.long 0xD2A00018, 0x00023318
.long 0x7E34151A
.long 0x7E36151B
.long 0xD2A00019, 0x0002371A
.long 0x924A9A24
.long 0x80104A10
.long 0x82118011
.long 0xE0741000, 0x80041809
.long 0xBF8C0F7F
.long 0xD0CC0034, 0x00010042
.long 0xD1000014, 0x00D228F2
.long 0xD1000015, 0x00D22AF2
.long 0xD3B14020, 0x18024114
.long 0xD0CC0034, 0x00010042
.long 0xD1000016, 0x00D22CF2
.long 0xD1000017, 0x00D22EF2
.long 0xD3B14022, 0x18024516
.long 0xD3A00020, 0x1482382D
.long 0xD3A01021, 0x1486382D
.long 0xD3A00022, 0x148A3A2D
.long 0xD3A01023, 0x148E3A2D
.long 0xD3B24004, 0x18024110
.long 0xD3B24006, 0x18024512
.long 0xBEC81E3E
.long 0x7E400304
.long 0x7E420305
.long 0x7E440306
.long 0x7E460307
.long 0x7E401520
.long 0x7E421521
.long 0xD2A00020, 0x00024320
.long 0x7E441522
.long 0x7E461523
.long 0xD2A00021, 0x00024722
.long 0x8E4A8124
.long 0x80104A10
.long 0x82118011
.long 0xE0741000, 0x80042009
.long 0xBF8C0F7F
	;; [unrolled: 30-line block ×16, first 2 shown]
.long 0x924A9A26
.long 0x80144A14
	;; [unrolled: 1-line block ×3, first 2 shown]
.long 0xE0541000, 0x80050E0A
.long 0x924A02FF, 0x00000100
	;; [unrolled: 1-line block ×3, first 2 shown]
.long 0x24161682
.long 0xD9FE0000, 0x1000000B
.long 0xE05C1000, 0x8010140C
.long 0x8E4A8126
.long 0x80144A14
.long 0x82158015
.long 0xE0541000, 0x80051C0A
.long 0x8E4A8126
.long 0x80144A14
.long 0x82158015
	;; [unrolled: 4-line block ×7, first 2 shown]
.long 0xE0541000, 0x8005400A
.long 0xD3D84018, 0x180001C0
	;; [unrolled: 1-line block ×33, first 2 shown]
.long 0xBF800001
.long 0x0A30302C
	;; [unrolled: 1-line block ×34, first 2 shown]
.long 0xD0CC0034, 0x00010042
.long 0xD1000014, 0x00D228F2
.long 0xD1000015, 0x00D22AF2
.long 0xD3B14018, 0x18023114
.long 0xD0CC0034, 0x00010042
.long 0xD1000016, 0x00D22CF2
.long 0xD1000017, 0x00D22EF2
.long 0xD3B1401A, 0x18023516
.long 0xD3A00018, 0x14621C2D
.long 0xD3A01019, 0x14661C2D
.long 0xD3A0001A, 0x146A1E2D
.long 0xD3A0101B, 0x146E1E2D
.long 0xD3B24004, 0x18023110
.long 0xD3B24006, 0x18023512
.long 0xBEC81E3E
.long 0x7E300304
.long 0x7E320305
.long 0x7E340306
.long 0x7E360307
.long 0x7E301518
.long 0x7E321519
.long 0xD2A00018, 0x00023318
.long 0x7E34151A
.long 0x7E36151B
.long 0xD2A00019, 0x0002371A
.long 0x924A9A24
.long 0x80104A10
.long 0x82118011
.long 0xE0741000, 0x80041809
.long 0xBF8C0F77
.long 0xD0CC0034, 0x00010042
.long 0xD1000014, 0x00D228F2
.long 0xD1000015, 0x00D22AF2
.long 0xD3B14020, 0x18024114
.long 0xD0CC0034, 0x00010042
.long 0xD1000016, 0x00D22CF2
.long 0xD1000017, 0x00D22EF2
.long 0xD3B14022, 0x18024516
.long 0xD3A00020, 0x1482382D
.long 0xD3A01021, 0x1486382D
.long 0xD3A00022, 0x148A3A2D
.long 0xD3A01023, 0x148E3A2D
.long 0xD3B24004, 0x18024110
.long 0xD3B24006, 0x18024512
.long 0xBEC81E3E
.long 0x7E400304
.long 0x7E420305
.long 0x7E440306
.long 0x7E460307
.long 0x7E401520
.long 0x7E421521
.long 0xD2A00020, 0x00024320
.long 0x7E441522
.long 0x7E461523
.long 0xD2A00021, 0x00024722
.long 0x8E4A8124
.long 0x80104A10
.long 0x82118011
.long 0xE0741000, 0x80042009
.long 0xBF8C0F77
	;; [unrolled: 30-line block ×8, first 2 shown]
.long 0xBF8213A0
.long 0x7F1202FF, 0x80000000
.long 0xD0C9004A, 0x00003100
	;; [unrolled: 1-line block ×3, first 2 shown]
.long 0x86CE4E4A
.long 0xD1FE0009, 0x02060102
.long 0xD1000009, 0x013A1389
	;; [unrolled: 1-line block ×5, first 2 shown]
.long 0x24141482
.long 0xD100000A, 0x013A1589
.long 0xBF8CC07F
.long 0xBF8A0000
.long 0xD9FE0000, 0x1000000A
.long 0x24160082
.long 0xE05C1000, 0x8010140B
.long 0xD1FE0009, 0x02060103
.long 0xD1000009, 0x013A1389
.long 0xD1196A01, 0x00010301
.long 0xD1340002, 0x00004D02
.long 0xD1340003, 0x00004903
.long 0xD0C9004A, 0x00003100
.long 0xD0C9004E, 0x00003301
.long 0x86CE4E4A
.long 0xD1FE000E, 0x02060102
.long 0xD100000E, 0x013A1D89
	;; [unrolled: 1-line block ×5, first 2 shown]
.long 0x241E1E82
.long 0xD100000F, 0x013A1F89
.long 0x24380082
.long 0xD1FE000E, 0x02060103
.long 0xD100000E, 0x013A1D89
	;; [unrolled: 1-line block ×7, first 2 shown]
.long 0x86CE4E4A
.long 0xD1FE001D, 0x02060102
.long 0xD100001D, 0x013A3B89
.long 0xE0541000, 0x8005261D
.long 0x924A02FF, 0x00000100
.long 0xD1350024, 0x00009500
.long 0x24484882
.long 0xD1000024, 0x013A4989
.long 0x244A0082
.long 0xD1FE001D, 0x02060103
.long 0xD100001D, 0x013A3B89
	;; [unrolled: 1-line block ×7, first 2 shown]
.long 0x86CE4E4A
.long 0xD1FE002C, 0x02060102
.long 0xD100002C, 0x013A5989
	;; [unrolled: 1-line block ×5, first 2 shown]
.long 0x245A5A82
.long 0xD100002D, 0x013A5B89
.long 0x245C0082
.long 0xD1FE002C, 0x02060103
.long 0xD100002C, 0x013A5989
	;; [unrolled: 1-line block ×3, first 2 shown]
.long 0x924A8D26
.long 0xD1340002, 0x00009502
.long 0x924A8D24
.long 0xD1340003, 0x00009503
.long 0xD0C9004A, 0x00003100
.long 0xD0C9004E, 0x00003301
.long 0x86CE4E4A
.long 0xD1FE002F, 0x02060102
.long 0xD100002F, 0x013A5F89
.long 0xE0541000, 0x8005382F
.long 0x924A02FF, 0x00000100
.long 0xD1350032, 0x00009500
.long 0x24646482
.long 0xD1000032, 0x013A6589
.long 0x24660082
.long 0xD1FE002F, 0x02060103
.long 0xD100002F, 0x013A5F89
.long 0xD1196A01, 0x00010301
.long 0xD1340002, 0x00004D02
.long 0xD1340003, 0x00004903
.long 0xD0C9004A, 0x00003100
.long 0xD0C9004E, 0x00003301
.long 0x86CE4E4A
.long 0xD1FE003A, 0x02060102
.long 0xD100003A, 0x013A7589
.long 0xE0541000, 0x8005423A
.long 0x924A02FF, 0x00000100
.long 0xD135003B, 0x00009500
.long 0x24767682
.long 0xD100003B, 0x013A7789
.long 0x24800082
.long 0xD1FE003A, 0x02060103
.long 0xD100003A, 0x013A7589
.long 0xD1196A01, 0x00010301
.long 0xD1340002, 0x00004D02
	;; [unrolled: 16-line block ×3, first 2 shown]
.long 0xD1340003, 0x00004903
.long 0xD0C9004A, 0x00003100
	;; [unrolled: 1-line block ×3, first 2 shown]
.long 0x86CE4E4A
.long 0xD1FE0050, 0x02060102
.long 0xD1000050, 0x013AA189
	;; [unrolled: 1-line block ×5, first 2 shown]
.long 0x24A2A282
.long 0xD1000051, 0x013AA389
.long 0x24A40082
.long 0xD1FE0050, 0x02060103
.long 0xD1000050, 0x013AA189
	;; [unrolled: 1-line block ×3, first 2 shown]
.long 0x924A8D26
.long 0xD1340002, 0x00009502
.long 0x924A8D24
.long 0xD1340003, 0x00009503
.long 0xD0C9004A, 0x00003100
.long 0xD0C9004E, 0x00003301
.long 0x86CE4E4A
.long 0xD1FE0053, 0x02060102
.long 0xD1000053, 0x013AA789
.long 0xE0541000, 0x80055C53
.long 0x924A02FF, 0x00000100
.long 0xD1350056, 0x00009500
.long 0x24ACAC82
.long 0xD1000056, 0x013AAD89
.long 0x24AE0082
.long 0xD1FE0053, 0x02060103
.long 0xD1000053, 0x013AA789
.long 0xD1196A01, 0x00010301
.long 0xD1340002, 0x00004D02
.long 0xD1340003, 0x00004903
.long 0xD0C9004A, 0x00003100
.long 0xD0C9004E, 0x00003301
.long 0x86CE4E4A
.long 0xD1FE005E, 0x02060102
.long 0xD100005E, 0x013ABD89
.long 0xE0541000, 0x8005665E
.long 0x924A02FF, 0x00000100
.long 0xD135005F, 0x00009500
.long 0x24BEBE82
.long 0xD100005F, 0x013ABF89
.long 0x24C80082
.long 0xD1FE005E, 0x02060103
.long 0xD100005E, 0x013ABD89
.long 0xD1196A01, 0x00010301
.long 0xD1340002, 0x00004D02
	;; [unrolled: 16-line block ×3, first 2 shown]
.long 0xD1340003, 0x00004903
.long 0xD0C9004A, 0x00003100
	;; [unrolled: 1-line block ×3, first 2 shown]
.long 0x86CE4E4A
.long 0xD1FE0074, 0x02060102
.long 0xD1000074, 0x013AE989
	;; [unrolled: 1-line block ×5, first 2 shown]
.long 0x24EAEA82
.long 0xD1000075, 0x013AEB89
.long 0x24EC0082
.long 0xD1FE0074, 0x02060103
.long 0xD1000074, 0x013AE989
.long 0xD1196A01, 0x00011B01
.long 0x924A8D26
.long 0xD1340002, 0x00009502
.long 0x924A8D24
.long 0xD1340003, 0x00009503
.long 0xD0C9004A, 0x00003100
	;; [unrolled: 1-line block ×3, first 2 shown]
.long 0x86CE4E4A
.long 0xD1FE0077, 0x02060102
.long 0xD1000077, 0x013AEF89
	;; [unrolled: 1-line block ×5, first 2 shown]
.long 0x24F4F482
.long 0xD100007A, 0x013AF589
.long 0x24F60082
.long 0xD1FE0077, 0x02060103
.long 0xD1000077, 0x013AEF89
	;; [unrolled: 1-line block ×7, first 2 shown]
.long 0x86CE4E4A
.long 0xD1FE0082, 0x02060102
.long 0xD1000082, 0x013B0589
	;; [unrolled: 1-line block ×5, first 2 shown]
.long 0x25070682
.long 0xD1000083, 0x013B0789
.long 0x25100082
.long 0xD1FE0082, 0x02060103
.long 0xD1000082, 0x013B0589
	;; [unrolled: 1-line block ×58, first 2 shown]
.long 0xBF800001
.long 0x0A30302C
	;; [unrolled: 1-line block ×58, first 2 shown]
.long 0xD0CC0034, 0x00010042
.long 0xD1000014, 0x00D228F2
.long 0xD1000015, 0x00D22AF2
.long 0xD3B14018, 0x18023114
.long 0xD0CC0034, 0x00010042
.long 0xD1000016, 0x00D22CF2
.long 0xD1000017, 0x00D22EF2
.long 0xD3B1401A, 0x18023516
.long 0xD3A00018, 0x1462182D
.long 0xD3A01019, 0x1466182D
.long 0xD3A0001A, 0x146A1A2D
.long 0xD3A0101B, 0x146E1A2D
.long 0xD3B24004, 0x18023110
.long 0xD3B24006, 0x18023512
.long 0xBEC81E3E
.long 0x7E300304
.long 0x7E320305
.long 0x7E340306
.long 0x7E360307
.long 0x7E301518
.long 0x7E321519
.long 0xD2A00018, 0x00023318
.long 0x7E34151A
.long 0x7E36151B
.long 0xD2A00019, 0x0002371A
.long 0xE0741000, 0x80041809
.long 0xD0CC0034, 0x00010042
.long 0xD1000014, 0x00D228F2
.long 0xD1000015, 0x00D22AF2
.long 0xD3B14020, 0x18024114
.long 0xD0CC0034, 0x00010042
.long 0xD1000016, 0x00D22CF2
.long 0xD1000017, 0x00D22EF2
.long 0xD3B14022, 0x18024516
.long 0xD3A00020, 0x14823C2D
.long 0xD3A01021, 0x14863C2D
.long 0xD3A00022, 0x148A3E2D
.long 0xD3A01023, 0x148E3E2D
.long 0xD3B24004, 0x18024110
.long 0xD3B24006, 0x18024512
.long 0xBEC81E3E
.long 0x7E400304
.long 0x7E420305
.long 0x7E440306
.long 0x7E460307
.long 0x7E401520
.long 0x7E421521
.long 0xD2A00020, 0x00024320
.long 0x7E441522
.long 0x7E461523
.long 0xD2A00021, 0x00024722
.long 0xE0741000, 0x8004200E
	;; [unrolled: 26-line block ×14, first 2 shown]
.long 0xBF800000
.long 0x7F1202FF, 0x80000000
.long 0xD1196A01, 0x00010301
	;; [unrolled: 1-line block ×6, first 2 shown]
.long 0x86CE4E4A
.long 0xD1FE0009, 0x02060102
.long 0xD1000009, 0x013A1389
	;; [unrolled: 1-line block ×5, first 2 shown]
.long 0x24141482
.long 0xD100000A, 0x013A1589
.long 0xD9FE0000, 0x1000000A
.long 0x24160082
.long 0xE05C1000, 0x8010140B
.long 0xD1FE0009, 0x02060103
	;; [unrolled: 1-line block ×8, first 2 shown]
.long 0x86CE4E4A
.long 0xD1FE000E, 0x02060102
.long 0xD100000E, 0x013A1D89
.long 0xE0541000, 0x80051E0E
.long 0x924A02FF, 0x00000100
.long 0xD135000F, 0x00009500
.long 0x241E1E82
.long 0xD100000F, 0x013A1F89
.long 0x24380082
.long 0xD1FE000E, 0x02060103
.long 0xD100000E, 0x013A1D89
.long 0xD1196A01, 0x00011B01
.long 0x924A8D26
.long 0xD1340002, 0x00009502
.long 0x924A8D24
.long 0xD1340003, 0x00009503
.long 0xD0C9004A, 0x00003100
.long 0xD0C9004E, 0x00003301
.long 0x86CE4E4A
.long 0xD1FE001D, 0x02060102
.long 0xD100001D, 0x013A3B89
.long 0xE0541000, 0x8005261D
.long 0x924A02FF, 0x00000100
.long 0xD1350024, 0x00009500
.long 0x24484882
.long 0xD1000024, 0x013A4989
.long 0x244A0082
.long 0xD1FE001D, 0x02060103
.long 0xD100001D, 0x013A3B89
.long 0xD1196A01, 0x00010301
.long 0xD1340002, 0x00004D02
.long 0xD1340003, 0x00004903
.long 0xD0C9004A, 0x00003100
.long 0xD0C9004E, 0x00003301
.long 0x86CE4E4A
.long 0xD1FE002C, 0x02060102
.long 0xD100002C, 0x013A5989
.long 0xE0541000, 0x8005302C
.long 0x924A02FF, 0x00000100
.long 0xD135002D, 0x00009500
.long 0x245A5A82
.long 0xD100002D, 0x013A5B89
.long 0x245C0082
.long 0xD1FE002C, 0x02060103
.long 0xD100002C, 0x013A5989
.long 0xD1196A01, 0x00010301
.long 0xD1340002, 0x00004D02
.long 0xD1340003, 0x00004903
.long 0xD0C9004A, 0x00003100
.long 0xD0C9004E, 0x00003301
.long 0x86CE4E4A
.long 0xD1FE002F, 0x02060102
.long 0xD100002F, 0x013A5F89
.long 0xE0541000, 0x8005382F
.long 0x924A02FF, 0x00000100
.long 0xD1350032, 0x00009500
.long 0x24646482
.long 0xD1000032, 0x013A6589
.long 0x24660082
.long 0xD1FE002F, 0x02060103
.long 0xD100002F, 0x013A5F89
.long 0xD1196A01, 0x00010301
.long 0xD1340002, 0x00004D02
.long 0xD1340003, 0x00004903
.long 0xD0C9004A, 0x00003100
	;; [unrolled: 1-line block ×3, first 2 shown]
.long 0x86CE4E4A
.long 0xD1FE003A, 0x02060102
.long 0xD100003A, 0x013A7589
	;; [unrolled: 1-line block ×5, first 2 shown]
.long 0x24767682
.long 0xD100003B, 0x013A7789
.long 0x24800082
.long 0xD1FE003A, 0x02060103
.long 0xD100003A, 0x013A7589
	;; [unrolled: 1-line block ×3, first 2 shown]
.long 0x924A8D26
.long 0xD1340002, 0x00009502
.long 0x924A8D24
.long 0xD1340003, 0x00009503
.long 0xD0C9004A, 0x00003100
.long 0xD0C9004E, 0x00003301
.long 0x86CE4E4A
.long 0xD1FE0041, 0x02060102
.long 0xD1000041, 0x013A8389
.long 0xE0541000, 0x80054A41
.long 0x924A02FF, 0x00000100
.long 0xD1350048, 0x00009500
.long 0x24909082
.long 0xD1000048, 0x013A9189
.long 0x24920082
.long 0xD1FE0041, 0x02060103
.long 0xD1000041, 0x013A8389
.long 0xD1196A01, 0x00010301
.long 0xD1340002, 0x00004D02
.long 0xD1340003, 0x00004903
.long 0xD0C9004A, 0x00003100
.long 0xD0C9004E, 0x00003301
.long 0x86CE4E4A
.long 0xD1FE0050, 0x02060102
.long 0xD1000050, 0x013AA189
.long 0xE0541000, 0x80055450
.long 0x924A02FF, 0x00000100
.long 0xD1350051, 0x00009500
.long 0x24A2A282
.long 0xD1000051, 0x013AA389
.long 0x24A40082
.long 0xD1FE0050, 0x02060103
.long 0xD1000050, 0x013AA189
.long 0xD1196A01, 0x00010301
.long 0xD1340002, 0x00004D02
	;; [unrolled: 16-line block ×3, first 2 shown]
.long 0xD1340003, 0x00004903
.long 0xD0C9004A, 0x00003100
	;; [unrolled: 1-line block ×3, first 2 shown]
.long 0x86CE4E4A
.long 0xD1FE005E, 0x02060102
.long 0xD100005E, 0x013ABD89
	;; [unrolled: 1-line block ×5, first 2 shown]
.long 0x24BEBE82
.long 0xD100005F, 0x013ABF89
.long 0x24C80082
.long 0xD1FE005E, 0x02060103
.long 0xD100005E, 0x013ABD89
	;; [unrolled: 1-line block ×3, first 2 shown]
.long 0x924A8D26
.long 0xD1340002, 0x00009502
.long 0x924A8D24
.long 0xD1340003, 0x00009503
.long 0xD0C9004A, 0x00003100
.long 0xD0C9004E, 0x00003301
.long 0x86CE4E4A
.long 0xD1FE0065, 0x02060102
.long 0xD1000065, 0x013ACB89
.long 0xE0541000, 0x80056E65
.long 0x924A02FF, 0x00000100
.long 0xD135006C, 0x00009500
.long 0x24D8D882
.long 0xD100006C, 0x013AD989
.long 0x24DA0082
.long 0xD1FE0065, 0x02060103
.long 0xD1000065, 0x013ACB89
.long 0xD1196A01, 0x00010301
.long 0xD1340002, 0x00004D02
.long 0xD1340003, 0x00004903
.long 0xD0C9004A, 0x00003100
.long 0xD0C9004E, 0x00003301
.long 0x86CE4E4A
.long 0xD1FE0074, 0x02060102
.long 0xD1000074, 0x013AE989
.long 0xE0541000, 0x80057874
.long 0x924A02FF, 0x00000100
.long 0xD1350075, 0x00009500
.long 0x24EAEA82
.long 0xD1000075, 0x013AEB89
.long 0x24EC0082
.long 0xD1FE0074, 0x02060103
.long 0xD1000074, 0x013AE989
.long 0xD1196A01, 0x00010301
.long 0xD1340002, 0x00004D02
	;; [unrolled: 16-line block ×4, first 2 shown]
.long 0xD3D8401A, 0x1800013A
.long 0xD3D8401B, 0x1800013E
	;; [unrolled: 1-line block ×54, first 2 shown]
.long 0xBF800001
.long 0x0A30302C
.long 0x0A32322C
.long 0x0A34342C
.long 0x0A36362C
.long 0x0A40402C
.long 0x0A42422C
.long 0x0A44442C
.long 0x0A46462C
.long 0x0A50502C
.long 0x0A52522C
.long 0x0A54542C
.long 0x0A56562C
.long 0x0A68682C
.long 0x0A6A6A2C
.long 0x0A6C6C2C
.long 0x0A6E6E2C
.long 0x0A78782C
.long 0x0A7A7A2C
.long 0x0A7C7C2C
.long 0x0A7E7E2C
.long 0x0A88882C
.long 0x0A8A8A2C
.long 0x0A8C8C2C
.long 0x0A8E8E2C
.long 0x0A98982C
.long 0x0A9A9A2C
.long 0x0A9C9C2C
.long 0x0A9E9E2C
.long 0x0AB0B02C
.long 0x0AB2B22C
.long 0x0AB4B42C
.long 0x0AB6B62C
.long 0x0AC0C02C
.long 0x0AC2C22C
.long 0x0AC4C42C
.long 0x0AC6C62C
.long 0x0AD0D02C
.long 0x0AD2D22C
.long 0x0AD4D42C
.long 0x0AD6D62C
.long 0x0AE0E02C
.long 0x0AE2E22C
.long 0x0AE4E42C
.long 0x0AE6E62C
.long 0x0AF8F82C
.long 0x0AFAFA2C
.long 0x0AFCFC2C
.long 0x0AFEFE2C
.long 0x0B09082C
.long 0x0B0B0A2C
.long 0x0B0D0C2C
.long 0x0B0F0E2C
.long 0x0B19182C
.long 0x0B1B1A2C
.long 0x0B1D1C2C
.long 0x0B1F1E2C
.long 0xBF8C0000
.long 0xD0CC0034, 0x00010042
.long 0xD1000014, 0x00D228F2
.long 0xD1000015, 0x00D22AF2
.long 0xD3B14018, 0x18023114
.long 0xD0CC0034, 0x00010042
.long 0xD1000016, 0x00D22CF2
.long 0xD1000017, 0x00D22EF2
.long 0xD3B1401A, 0x18023516
.long 0xD3A00018, 0x1462182D
.long 0xD3A01019, 0x1466182D
.long 0xD3A0001A, 0x146A1A2D
.long 0xD3A0101B, 0x146E1A2D
.long 0xD3B24004, 0x18023110
.long 0xD3B24006, 0x18023512
.long 0xBEC81E3E
.long 0x7E300304
.long 0x7E320305
.long 0x7E340306
.long 0x7E360307
.long 0x7E301518
.long 0x7E321519
.long 0xD2A00018, 0x00023318
.long 0x7E34151A
.long 0x7E36151B
.long 0xD2A00019, 0x0002371A
.long 0xE0741000, 0x80041809
.long 0xD0CC0034, 0x00010042
.long 0xD1000014, 0x00D228F2
.long 0xD1000015, 0x00D22AF2
.long 0xD3B14020, 0x18024114
.long 0xD0CC0034, 0x00010042
.long 0xD1000016, 0x00D22CF2
.long 0xD1000017, 0x00D22EF2
.long 0xD3B14022, 0x18024516
.long 0xD3A00020, 0x14823C2D
.long 0xD3A01021, 0x14863C2D
.long 0xD3A00022, 0x148A3E2D
.long 0xD3A01023, 0x148E3E2D
.long 0xD3B24004, 0x18024110
.long 0xD3B24006, 0x18024512
.long 0xBEC81E3E
.long 0x7E400304
.long 0x7E420305
.long 0x7E440306
.long 0x7E460307
.long 0x7E401520
.long 0x7E421521
.long 0xD2A00020, 0x00024320
.long 0x7E441522
.long 0x7E461523
.long 0xD2A00021, 0x00024722
.long 0xE0741000, 0x8004200E
.long 0xD0CC0034, 0x00010042
.long 0xD1000014, 0x00D228F2
.long 0xD1000015, 0x00D22AF2
.long 0xD3B14028, 0x18025114
.long 0xD0CC0034, 0x00010042
.long 0xD1000016, 0x00D22CF2
.long 0xD1000017, 0x00D22EF2
.long 0xD3B1402A, 0x18025516
.long 0xD3A00028, 0x14A24C2D
.long 0xD3A01029, 0x14A64C2D
.long 0xD3A0002A, 0x14AA4E2D
.long 0xD3A0102B, 0x14AE4E2D
.long 0xD3B24004, 0x18025110
.long 0xD3B24006, 0x18025512
.long 0xBEC81E3E
.long 0x7E500304
.long 0x7E520305
.long 0x7E540306
.long 0x7E560307
.long 0x7E501528
.long 0x7E521529
.long 0xD2A00028, 0x00025328
.long 0x7E54152A
.long 0x7E56152B
.long 0xD2A00029, 0x0002572A
.long 0xE0741000, 0x8004281D
.long 0xD0CC0034, 0x00010042
.long 0xD1000014, 0x00D228F2
.long 0xD1000015, 0x00D22AF2
.long 0xD3B14034, 0x18026914
.long 0xD0CC0034, 0x00010042
.long 0xD1000016, 0x00D22CF2
.long 0xD1000017, 0x00D22EF2
.long 0xD3B14036, 0x18026D16
.long 0xD3A00034, 0x14D2602D
.long 0xD3A01035, 0x14D6602D
.long 0xD3A00036, 0x14DA622D
.long 0xD3A01037, 0x14DE622D
.long 0xD3B24004, 0x18026910
.long 0xD3B24006, 0x18026D12
.long 0xBEC81E3E
.long 0x7E680304
.long 0x7E6A0305
.long 0x7E6C0306
.long 0x7E6E0307
.long 0x7E681534
.long 0x7E6A1535
.long 0xD2A00034, 0x00026B34
.long 0x7E6C1536
.long 0x7E6E1537
.long 0xD2A00035, 0x00026F36
.long 0xE0741000, 0x8004342C
.long 0xD0CC0034, 0x00010042
.long 0xD1000014, 0x00D228F2
.long 0xD1000015, 0x00D22AF2
.long 0xD3B1403C, 0x18027914
.long 0xD0CC0034, 0x00010042
.long 0xD1000016, 0x00D22CF2
.long 0xD1000017, 0x00D22EF2
.long 0xD3B1403E, 0x18027D16
.long 0xD3A0003C, 0x14F2702D
.long 0xD3A0103D, 0x14F6702D
.long 0xD3A0003E, 0x14FA722D
.long 0xD3A0103F, 0x14FE722D
.long 0xD3B24004, 0x18027910
.long 0xD3B24006, 0x18027D12
.long 0xBEC81E3E
.long 0x7E780304
.long 0x7E7A0305
.long 0x7E7C0306
.long 0x7E7E0307
.long 0x7E78153C
.long 0x7E7A153D
.long 0xD2A0003C, 0x00027B3C
.long 0x7E7C153E
.long 0x7E7E153F
.long 0xD2A0003D, 0x00027F3E
.long 0xE0741000, 0x80043C2F
.long 0xD0CC0034, 0x00010042
.long 0xD1000014, 0x00D228F2
.long 0xD1000015, 0x00D22AF2
.long 0xD3B14044, 0x18028914
.long 0xD0CC0034, 0x00010042
.long 0xD1000016, 0x00D22CF2
.long 0xD1000017, 0x00D22EF2
.long 0xD3B14046, 0x18028D16
.long 0xD3A00044, 0x1512842D
.long 0xD3A01045, 0x1516842D
.long 0xD3A00046, 0x151A862D
.long 0xD3A01047, 0x151E862D
.long 0xD3B24004, 0x18028910
.long 0xD3B24006, 0x18028D12
.long 0xBEC81E3E
.long 0x7E880304
.long 0x7E8A0305
.long 0x7E8C0306
.long 0x7E8E0307
.long 0x7E881544
.long 0x7E8A1545
.long 0xD2A00044, 0x00028B44
.long 0x7E8C1546
.long 0x7E8E1547
.long 0xD2A00045, 0x00028F46
.long 0xE0741000, 0x8004443A
.long 0xD0CC0034, 0x00010042
.long 0xD1000014, 0x00D228F2
.long 0xD1000015, 0x00D22AF2
.long 0xD3B1404C, 0x18029914
.long 0xD0CC0034, 0x00010042
.long 0xD1000016, 0x00D22CF2
.long 0xD1000017, 0x00D22EF2
.long 0xD3B1404E, 0x18029D16
.long 0xD3A0004C, 0x1532942D
.long 0xD3A0104D, 0x1536942D
.long 0xD3A0004E, 0x153A962D
.long 0xD3A0104F, 0x153E962D
.long 0xD3B24004, 0x18029910
.long 0xD3B24006, 0x18029D12
.long 0xBEC81E3E
.long 0x7E980304
.long 0x7E9A0305
.long 0x7E9C0306
.long 0x7E9E0307
.long 0x7E98154C
.long 0x7E9A154D
.long 0xD2A0004C, 0x00029B4C
.long 0x7E9C154E
.long 0x7E9E154F
.long 0xD2A0004D, 0x00029F4E
.long 0xE0741000, 0x80044C41
.long 0xD0CC0034, 0x00010042
.long 0xD1000014, 0x00D228F2
.long 0xD1000015, 0x00D22AF2
.long 0xD3B14058, 0x1802B114
.long 0xD0CC0034, 0x00010042
.long 0xD1000016, 0x00D22CF2
.long 0xD1000017, 0x00D22EF2
.long 0xD3B1405A, 0x1802B516
.long 0xD3A00058, 0x1562A82D
.long 0xD3A01059, 0x1566A82D
.long 0xD3A0005A, 0x156AAA2D
.long 0xD3A0105B, 0x156EAA2D
.long 0xD3B24004, 0x1802B110
.long 0xD3B24006, 0x1802B512
.long 0xBEC81E3E
.long 0x7EB00304
.long 0x7EB20305
.long 0x7EB40306
.long 0x7EB60307
.long 0x7EB01558
.long 0x7EB21559
.long 0xD2A00058, 0x0002B358
.long 0x7EB4155A
.long 0x7EB6155B
.long 0xD2A00059, 0x0002B75A
.long 0xE0741000, 0x80045850
.long 0xD0CC0034, 0x00010042
.long 0xD1000014, 0x00D228F2
.long 0xD1000015, 0x00D22AF2
.long 0xD3B14060, 0x1802C114
.long 0xD0CC0034, 0x00010042
.long 0xD1000016, 0x00D22CF2
.long 0xD1000017, 0x00D22EF2
.long 0xD3B14062, 0x1802C516
.long 0xD3A00060, 0x1582B82D
.long 0xD3A01061, 0x1586B82D
.long 0xD3A00062, 0x158ABA2D
.long 0xD3A01063, 0x158EBA2D
.long 0xD3B24004, 0x1802C110
.long 0xD3B24006, 0x1802C512
.long 0xBEC81E3E
.long 0x7EC00304
.long 0x7EC20305
.long 0x7EC40306
.long 0x7EC60307
.long 0x7EC01560
.long 0x7EC21561
.long 0xD2A00060, 0x0002C360
.long 0x7EC41562
.long 0x7EC61563
.long 0xD2A00061, 0x0002C762
.long 0xE0741000, 0x80046053
.long 0xD0CC0034, 0x00010042
.long 0xD1000014, 0x00D228F2
.long 0xD1000015, 0x00D22AF2
.long 0xD3B14068, 0x1802D114
.long 0xD0CC0034, 0x00010042
.long 0xD1000016, 0x00D22CF2
.long 0xD1000017, 0x00D22EF2
.long 0xD3B1406A, 0x1802D516
.long 0xD3A00068, 0x15A2CC2D
.long 0xD3A01069, 0x15A6CC2D
.long 0xD3A0006A, 0x15AACE2D
.long 0xD3A0106B, 0x15AECE2D
.long 0xD3B24004, 0x1802D110
.long 0xD3B24006, 0x1802D512
.long 0xBEC81E3E
.long 0x7ED00304
.long 0x7ED20305
.long 0x7ED40306
.long 0x7ED60307
.long 0x7ED01568
.long 0x7ED21569
.long 0xD2A00068, 0x0002D368
.long 0x7ED4156A
.long 0x7ED6156B
.long 0xD2A00069, 0x0002D76A
.long 0xE0741000, 0x8004685E
.long 0xD0CC0034, 0x00010042
.long 0xD1000014, 0x00D228F2
.long 0xD1000015, 0x00D22AF2
.long 0xD3B14070, 0x1802E114
.long 0xD0CC0034, 0x00010042
.long 0xD1000016, 0x00D22CF2
.long 0xD1000017, 0x00D22EF2
.long 0xD3B14072, 0x1802E516
.long 0xD3A00070, 0x15C2DC2D
.long 0xD3A01071, 0x15C6DC2D
.long 0xD3A00072, 0x15CADE2D
.long 0xD3A01073, 0x15CEDE2D
.long 0xD3B24004, 0x1802E110
.long 0xD3B24006, 0x1802E512
.long 0xBEC81E3E
.long 0x7EE00304
.long 0x7EE20305
.long 0x7EE40306
.long 0x7EE60307
.long 0x7EE01570
.long 0x7EE21571
.long 0xD2A00070, 0x0002E370
.long 0x7EE41572
.long 0x7EE61573
.long 0xD2A00071, 0x0002E772
.long 0xE0741000, 0x80047065
.long 0xD0CC0034, 0x00010042
.long 0xD1000014, 0x00D228F2
.long 0xD1000015, 0x00D22AF2
.long 0xD3B1407C, 0x1802F914
.long 0xD0CC0034, 0x00010042
.long 0xD1000016, 0x00D22CF2
.long 0xD1000017, 0x00D22EF2
.long 0xD3B1407E, 0x1802FD16
.long 0xD3A0007C, 0x15F2F02D
.long 0xD3A0107D, 0x15F6F02D
.long 0xD3A0007E, 0x15FAF22D
.long 0xD3A0107F, 0x15FEF22D
.long 0xD3B24004, 0x1802F910
.long 0xD3B24006, 0x1802FD12
.long 0xBEC81E3E
.long 0x7EF80304
.long 0x7EFA0305
.long 0x7EFC0306
.long 0x7EFE0307
.long 0x7EF8157C
.long 0x7EFA157D
.long 0xD2A0007C, 0x0002FB7C
.long 0x7EFC157E
.long 0x7EFE157F
.long 0xD2A0007D, 0x0002FF7E
.long 0xE0741000, 0x80047C74
.long 0xD0CC0034, 0x00010042
.long 0xD1000014, 0x00D228F2
.long 0xD1000015, 0x00D22AF2
.long 0xD3B14084, 0x18030914
.long 0xD0CC0034, 0x00010042
.long 0xD1000016, 0x00D22CF2
.long 0xD1000017, 0x00D22EF2
.long 0xD3B14086, 0x18030D16
.long 0xD3A00084, 0x1613002D
.long 0xD3A01085, 0x1617002D
.long 0xD3A00086, 0x161B022D
.long 0xD3A01087, 0x161F022D
.long 0xD3B24004, 0x18030910
.long 0xD3B24006, 0x18030D12
.long 0xBEC81E3E
.long 0x7F080304
.long 0x7F0A0305
.long 0x7F0C0306
.long 0x7F0E0307
.long 0x7F081584
.long 0x7F0A1585
.long 0xD2A00084, 0x00030B84
.long 0x7F0C1586
.long 0x7F0E1587
.long 0xD2A00085, 0x00030F86
.long 0xE0741000, 0x80048477
.long 0xD0CC0034, 0x00010042
.long 0xD1000014, 0x00D228F2
.long 0xD1000015, 0x00D22AF2
.long 0xD3B1408C, 0x18031914
.long 0xD0CC0034, 0x00010042
.long 0xD1000016, 0x00D22CF2
.long 0xD1000017, 0x00D22EF2
.long 0xD3B1408E, 0x18031D16
.long 0xD3A0008C, 0x1633142D
.long 0xD3A0108D, 0x1637142D
.long 0xD3A0008E, 0x163B162D
.long 0xD3A0108F, 0x163F162D
.long 0xD3B24004, 0x18031910
.long 0xD3B24006, 0x18031D12
.long 0xBEC81E3E
.long 0x7F180304
.long 0x7F1A0305
.long 0x7F1C0306
.long 0x7F1E0307
.long 0x7F18158C
.long 0x7F1A158D
.long 0xD2A0008C, 0x00031B8C
.long 0x7F1C158E
.long 0x7F1E158F
.long 0xD2A0008D, 0x00031F8E
.long 0xE0741000, 0x80048C82
.long 0xBF800000
.long 0x7F1202FF, 0x80000000
.long 0xD1196A01, 0x00011B01
.long 0x924A8D26
.long 0xD1340002, 0x00009502
.long 0x924A8D24
.long 0xD1340003, 0x00009503
.long 0xD0C9004A, 0x00003100
	;; [unrolled: 1-line block ×3, first 2 shown]
.long 0x86CE4E4A
.long 0xD1FE0009, 0x02060102
.long 0xD1000009, 0x013A1389
	;; [unrolled: 1-line block ×5, first 2 shown]
.long 0x24141482
.long 0xD100000A, 0x013A1589
.long 0xD9FE0000, 0x1000000A
.long 0x24160082
.long 0xE05C1000, 0x8010140B
.long 0xD1FE0009, 0x02060103
	;; [unrolled: 1-line block ×8, first 2 shown]
.long 0x86CE4E4A
.long 0xD1FE000E, 0x02060102
.long 0xD100000E, 0x013A1D89
	;; [unrolled: 1-line block ×5, first 2 shown]
.long 0x241E1E82
.long 0xD100000F, 0x013A1F89
.long 0x24380082
.long 0xD1FE000E, 0x02060103
.long 0xD100000E, 0x013A1D89
	;; [unrolled: 1-line block ×7, first 2 shown]
.long 0x86CE4E4A
.long 0xD1FE001D, 0x02060102
.long 0xD100001D, 0x013A3B89
	;; [unrolled: 1-line block ×5, first 2 shown]
.long 0x24484882
.long 0xD1000024, 0x013A4989
.long 0x244A0082
.long 0xD1FE001D, 0x02060103
.long 0xD100001D, 0x013A3B89
	;; [unrolled: 1-line block ×7, first 2 shown]
.long 0x86CE4E4A
.long 0xD1FE002C, 0x02060102
.long 0xD100002C, 0x013A5989
.long 0xE0541000, 0x8005302C
.long 0x924A02FF, 0x00000100
.long 0xD135002D, 0x00009500
.long 0x245A5A82
.long 0xD100002D, 0x013A5B89
.long 0x245C0082
.long 0xD1FE002C, 0x02060103
.long 0xD100002C, 0x013A5989
	;; [unrolled: 1-line block ×3, first 2 shown]
.long 0x924A8D26
.long 0xD1340002, 0x00009502
.long 0x924A8D24
.long 0xD1340003, 0x00009503
.long 0xD0C9004A, 0x00003100
.long 0xD0C9004E, 0x00003301
.long 0x86CE4E4A
.long 0xD1FE002F, 0x02060102
.long 0xD100002F, 0x013A5F89
.long 0xE0541000, 0x8005382F
.long 0x924A02FF, 0x00000100
.long 0xD1350032, 0x00009500
.long 0x24646482
.long 0xD1000032, 0x013A6589
.long 0x24660082
.long 0xD1FE002F, 0x02060103
.long 0xD100002F, 0x013A5F89
.long 0xD1196A01, 0x00010301
.long 0xD1340002, 0x00004D02
.long 0xD1340003, 0x00004903
.long 0xD0C9004A, 0x00003100
.long 0xD0C9004E, 0x00003301
.long 0x86CE4E4A
.long 0xD1FE003A, 0x02060102
.long 0xD100003A, 0x013A7589
.long 0xE0541000, 0x8005423A
.long 0x924A02FF, 0x00000100
.long 0xD135003B, 0x00009500
.long 0x24767682
.long 0xD100003B, 0x013A7789
.long 0x24800082
.long 0xD1FE003A, 0x02060103
.long 0xD100003A, 0x013A7589
.long 0xD1196A01, 0x00010301
.long 0xD1340002, 0x00004D02
	;; [unrolled: 16-line block ×3, first 2 shown]
.long 0xD1340003, 0x00004903
.long 0xD0C9004A, 0x00003100
	;; [unrolled: 1-line block ×3, first 2 shown]
.long 0x86CE4E4A
.long 0xD1FE0050, 0x02060102
.long 0xD1000050, 0x013AA189
	;; [unrolled: 1-line block ×5, first 2 shown]
.long 0x24A2A282
.long 0xD1000051, 0x013AA389
.long 0x24A40082
.long 0xD1FE0050, 0x02060103
.long 0xD1000050, 0x013AA189
	;; [unrolled: 1-line block ×3, first 2 shown]
.long 0x924A8D26
.long 0xD1340002, 0x00009502
.long 0x924A8D24
.long 0xD1340003, 0x00009503
.long 0xD0C9004A, 0x00003100
.long 0xD0C9004E, 0x00003301
.long 0x86CE4E4A
.long 0xD1FE0053, 0x02060102
.long 0xD1000053, 0x013AA789
.long 0xE0541000, 0x80055C53
.long 0x924A02FF, 0x00000100
.long 0xD1350056, 0x00009500
.long 0x24ACAC82
.long 0xD1000056, 0x013AAD89
.long 0x24AE0082
.long 0xD1FE0053, 0x02060103
.long 0xD1000053, 0x013AA789
.long 0xD1196A01, 0x00010301
.long 0xD1340002, 0x00004D02
.long 0xD1340003, 0x00004903
.long 0xD0C9004A, 0x00003100
.long 0xD0C9004E, 0x00003301
.long 0x86CE4E4A
.long 0xD1FE005E, 0x02060102
.long 0xD100005E, 0x013ABD89
.long 0xE0541000, 0x8005665E
.long 0x924A02FF, 0x00000100
.long 0xD135005F, 0x00009500
.long 0x24BEBE82
.long 0xD100005F, 0x013ABF89
.long 0x24C80082
.long 0xD1FE005E, 0x02060103
.long 0xD100005E, 0x013ABD89
.long 0xD1196A01, 0x00010301
.long 0xD1340002, 0x00004D02
	;; [unrolled: 16-line block ×3, first 2 shown]
.long 0xD1340003, 0x00004903
.long 0xD0C9004A, 0x00003100
	;; [unrolled: 1-line block ×3, first 2 shown]
.long 0x86CE4E4A
.long 0xD1FE0074, 0x02060102
.long 0xD1000074, 0x013AE989
	;; [unrolled: 1-line block ×5, first 2 shown]
.long 0x24EAEA82
.long 0xD1000075, 0x013AEB89
.long 0x24EC0082
.long 0xD1FE0074, 0x02060103
.long 0xD1000074, 0x013AE989
	;; [unrolled: 1-line block ×3, first 2 shown]
.long 0x924A8D26
.long 0xD1340002, 0x00009502
.long 0x924A8D24
.long 0xD1340003, 0x00009503
.long 0xD0C9004A, 0x00003100
	;; [unrolled: 1-line block ×3, first 2 shown]
.long 0x86CE4E4A
.long 0xD1FE0077, 0x02060102
.long 0xD1000077, 0x013AEF89
	;; [unrolled: 1-line block ×5, first 2 shown]
.long 0x24F4F482
.long 0xD100007A, 0x013AF589
.long 0x24F60082
.long 0xD1FE0077, 0x02060103
.long 0xD1000077, 0x013AEF89
	;; [unrolled: 1-line block ×7, first 2 shown]
.long 0x86CE4E4A
.long 0xD1FE0082, 0x02060102
.long 0xD1000082, 0x013B0589
	;; [unrolled: 1-line block ×5, first 2 shown]
.long 0x25070682
.long 0xD1000083, 0x013B0789
.long 0x25100082
.long 0xD1FE0082, 0x02060103
.long 0xD1000082, 0x013B0589
	;; [unrolled: 1-line block ×58, first 2 shown]
.long 0xBF800001
.long 0x0A30302C
	;; [unrolled: 1-line block ×58, first 2 shown]
.long 0xD0CC0034, 0x00010042
.long 0xD1000014, 0x00D228F2
.long 0xD1000015, 0x00D22AF2
.long 0xD3B14018, 0x18023114
.long 0xD0CC0034, 0x00010042
.long 0xD1000016, 0x00D22CF2
.long 0xD1000017, 0x00D22EF2
.long 0xD3B1401A, 0x18023516
.long 0xD3A00018, 0x1462182D
.long 0xD3A01019, 0x1466182D
.long 0xD3A0001A, 0x146A1A2D
.long 0xD3A0101B, 0x146E1A2D
.long 0xD3B24004, 0x18023110
.long 0xD3B24006, 0x18023512
.long 0xBEC81E3E
.long 0x7E300304
.long 0x7E320305
.long 0x7E340306
.long 0x7E360307
.long 0x7E301518
.long 0x7E321519
.long 0xD2A00018, 0x00023318
.long 0x7E34151A
.long 0x7E36151B
.long 0xD2A00019, 0x0002371A
.long 0xE0741000, 0x80041809
.long 0xD0CC0034, 0x00010042
.long 0xD1000014, 0x00D228F2
.long 0xD1000015, 0x00D22AF2
.long 0xD3B14020, 0x18024114
.long 0xD0CC0034, 0x00010042
.long 0xD1000016, 0x00D22CF2
.long 0xD1000017, 0x00D22EF2
.long 0xD3B14022, 0x18024516
.long 0xD3A00020, 0x14823C2D
.long 0xD3A01021, 0x14863C2D
.long 0xD3A00022, 0x148A3E2D
.long 0xD3A01023, 0x148E3E2D
.long 0xD3B24004, 0x18024110
.long 0xD3B24006, 0x18024512
.long 0xBEC81E3E
.long 0x7E400304
.long 0x7E420305
.long 0x7E440306
.long 0x7E460307
.long 0x7E401520
.long 0x7E421521
.long 0xD2A00020, 0x00024320
.long 0x7E441522
.long 0x7E461523
.long 0xD2A00021, 0x00024722
.long 0xE0741000, 0x8004200E
	;; [unrolled: 26-line block ×14, first 2 shown]
.long 0xBF800000
.long 0x7F1202FF, 0x80000000
.long 0xD1196A01, 0x00010301
	;; [unrolled: 1-line block ×6, first 2 shown]
.long 0x86CE4E4A
.long 0xD1FE0009, 0x02060102
.long 0xD1000009, 0x013A1389
	;; [unrolled: 1-line block ×5, first 2 shown]
.long 0x24141482
.long 0xD100000A, 0x013A1589
.long 0xD9FE0000, 0x1000000A
.long 0x24160082
.long 0xE05C1000, 0x8010140B
.long 0xD1FE0009, 0x02060103
.long 0xD1000009, 0x013A1389
.long 0xD1196A01, 0x00010301
.long 0xD1340002, 0x00004D02
.long 0xD1340003, 0x00004903
.long 0xD0C9004A, 0x00003100
.long 0xD0C9004E, 0x00003301
.long 0x86CE4E4A
.long 0xD1FE000E, 0x02060102
.long 0xD100000E, 0x013A1D89
	;; [unrolled: 1-line block ×5, first 2 shown]
.long 0x241E1E82
.long 0xD100000F, 0x013A1F89
.long 0x24380082
.long 0xD1FE000E, 0x02060103
.long 0xD100000E, 0x013A1D89
	;; [unrolled: 1-line block ×3, first 2 shown]
.long 0x924A8D26
.long 0xD1340002, 0x00009502
.long 0x924A8D24
.long 0xD1340003, 0x00009503
.long 0xD0C9004A, 0x00003100
.long 0xD0C9004E, 0x00003301
.long 0x86CE4E4A
.long 0xD1FE001D, 0x02060102
.long 0xD100001D, 0x013A3B89
.long 0xE0541000, 0x8005261D
.long 0x924A02FF, 0x00000100
.long 0xD1350024, 0x00009500
.long 0x24484882
.long 0xD1000024, 0x013A4989
.long 0x244A0082
.long 0xD1FE001D, 0x02060103
.long 0xD100001D, 0x013A3B89
.long 0xD1196A01, 0x00010301
.long 0xD1340002, 0x00004D02
.long 0xD1340003, 0x00004903
.long 0xD0C9004A, 0x00003100
.long 0xD0C9004E, 0x00003301
.long 0x86CE4E4A
.long 0xD1FE002C, 0x02060102
.long 0xD100002C, 0x013A5989
.long 0xE0541000, 0x8005302C
.long 0x924A02FF, 0x00000100
.long 0xD135002D, 0x00009500
.long 0x245A5A82
.long 0xD100002D, 0x013A5B89
.long 0x245C0082
.long 0xD1FE002C, 0x02060103
.long 0xD100002C, 0x013A5989
.long 0xD1196A01, 0x00010301
.long 0xD1340002, 0x00004D02
	;; [unrolled: 16-line block ×3, first 2 shown]
.long 0xD1340003, 0x00004903
.long 0xD0C9004A, 0x00003100
	;; [unrolled: 1-line block ×3, first 2 shown]
.long 0x86CE4E4A
.long 0xD1FE003A, 0x02060102
.long 0xD100003A, 0x013A7589
	;; [unrolled: 1-line block ×5, first 2 shown]
.long 0x24767682
.long 0xD100003B, 0x013A7789
.long 0x24800082
.long 0xD1FE003A, 0x02060103
.long 0xD100003A, 0x013A7589
	;; [unrolled: 1-line block ×3, first 2 shown]
.long 0x924A8D26
.long 0xD1340002, 0x00009502
.long 0x924A8D24
.long 0xD1340003, 0x00009503
.long 0xD0C9004A, 0x00003100
.long 0xD0C9004E, 0x00003301
.long 0x86CE4E4A
.long 0xD1FE0041, 0x02060102
.long 0xD1000041, 0x013A8389
.long 0xE0541000, 0x80054A41
.long 0x924A02FF, 0x00000100
.long 0xD1350048, 0x00009500
.long 0x24909082
.long 0xD1000048, 0x013A9189
.long 0x24920082
.long 0xD1FE0041, 0x02060103
.long 0xD1000041, 0x013A8389
.long 0xD1196A01, 0x00010301
.long 0xD1340002, 0x00004D02
.long 0xD1340003, 0x00004903
.long 0xD0C9004A, 0x00003100
.long 0xD0C9004E, 0x00003301
.long 0x86CE4E4A
.long 0xD1FE0050, 0x02060102
.long 0xD1000050, 0x013AA189
.long 0xE0541000, 0x80055450
.long 0x924A02FF, 0x00000100
.long 0xD1350051, 0x00009500
.long 0x24A2A282
.long 0xD1000051, 0x013AA389
.long 0x24A40082
.long 0xD1FE0050, 0x02060103
.long 0xD1000050, 0x013AA189
.long 0xD1196A01, 0x00010301
.long 0xD1340002, 0x00004D02
	;; [unrolled: 16-line block ×3, first 2 shown]
.long 0xD1340003, 0x00004903
.long 0xD0C9004A, 0x00003100
	;; [unrolled: 1-line block ×3, first 2 shown]
.long 0x86CE4E4A
.long 0xD1FE005E, 0x02060102
.long 0xD100005E, 0x013ABD89
	;; [unrolled: 1-line block ×5, first 2 shown]
.long 0x24BEBE82
.long 0xD100005F, 0x013ABF89
.long 0x24C80082
.long 0xD1FE005E, 0x02060103
.long 0xD100005E, 0x013ABD89
	;; [unrolled: 1-line block ×3, first 2 shown]
.long 0x924A8D26
.long 0xD1340002, 0x00009502
.long 0x924A8D24
.long 0xD1340003, 0x00009503
.long 0xD0C9004A, 0x00003100
.long 0xD0C9004E, 0x00003301
.long 0x86CE4E4A
.long 0xD1FE0065, 0x02060102
.long 0xD1000065, 0x013ACB89
.long 0xE0541000, 0x80056E65
.long 0x924A02FF, 0x00000100
.long 0xD135006C, 0x00009500
.long 0x24D8D882
.long 0xD100006C, 0x013AD989
.long 0x24DA0082
.long 0xD1FE0065, 0x02060103
.long 0xD1000065, 0x013ACB89
.long 0xD1196A01, 0x00010301
.long 0xD1340002, 0x00004D02
.long 0xD1340003, 0x00004903
.long 0xD0C9004A, 0x00003100
.long 0xD0C9004E, 0x00003301
.long 0x86CE4E4A
.long 0xD1FE0074, 0x02060102
.long 0xD1000074, 0x013AE989
.long 0xE0541000, 0x80057874
.long 0x924A02FF, 0x00000100
.long 0xD1350075, 0x00009500
.long 0x24EAEA82
.long 0xD1000075, 0x013AEB89
.long 0x24EC0082
.long 0xD1FE0074, 0x02060103
.long 0xD1000074, 0x013AE989
.long 0xD1196A01, 0x00010301
.long 0xD1340002, 0x00004D02
	;; [unrolled: 16-line block ×4, first 2 shown]
.long 0xD3D8401A, 0x180001AA
.long 0xD3D8401B, 0x180001AE
	;; [unrolled: 1-line block ×54, first 2 shown]
.long 0xBF800001
.long 0x0A30302C
.long 0x0A32322C
.long 0x0A34342C
.long 0x0A36362C
.long 0x0A40402C
.long 0x0A42422C
.long 0x0A44442C
.long 0x0A46462C
.long 0x0A50502C
.long 0x0A52522C
.long 0x0A54542C
.long 0x0A56562C
.long 0x0A68682C
.long 0x0A6A6A2C
.long 0x0A6C6C2C
.long 0x0A6E6E2C
.long 0x0A78782C
.long 0x0A7A7A2C
.long 0x0A7C7C2C
.long 0x0A7E7E2C
.long 0x0A88882C
.long 0x0A8A8A2C
.long 0x0A8C8C2C
.long 0x0A8E8E2C
.long 0x0A98982C
.long 0x0A9A9A2C
.long 0x0A9C9C2C
.long 0x0A9E9E2C
.long 0x0AB0B02C
.long 0x0AB2B22C
.long 0x0AB4B42C
.long 0x0AB6B62C
.long 0x0AC0C02C
.long 0x0AC2C22C
.long 0x0AC4C42C
.long 0x0AC6C62C
.long 0x0AD0D02C
.long 0x0AD2D22C
.long 0x0AD4D42C
.long 0x0AD6D62C
.long 0x0AE0E02C
.long 0x0AE2E22C
.long 0x0AE4E42C
.long 0x0AE6E62C
.long 0x0AF8F82C
.long 0x0AFAFA2C
.long 0x0AFCFC2C
.long 0x0AFEFE2C
.long 0x0B09082C
.long 0x0B0B0A2C
.long 0x0B0D0C2C
.long 0x0B0F0E2C
.long 0x0B19182C
.long 0x0B1B1A2C
.long 0x0B1D1C2C
.long 0x0B1F1E2C
.long 0xBF8C0000
.long 0xD0CC0034, 0x00010042
.long 0xD1000014, 0x00D228F2
.long 0xD1000015, 0x00D22AF2
.long 0xD3B14018, 0x18023114
.long 0xD0CC0034, 0x00010042
.long 0xD1000016, 0x00D22CF2
.long 0xD1000017, 0x00D22EF2
.long 0xD3B1401A, 0x18023516
.long 0xD3A00018, 0x1462182D
.long 0xD3A01019, 0x1466182D
.long 0xD3A0001A, 0x146A1A2D
.long 0xD3A0101B, 0x146E1A2D
.long 0xD3B24004, 0x18023110
.long 0xD3B24006, 0x18023512
.long 0xBEC81E3E
.long 0x7E300304
.long 0x7E320305
.long 0x7E340306
.long 0x7E360307
.long 0x7E301518
.long 0x7E321519
.long 0xD2A00018, 0x00023318
.long 0x7E34151A
.long 0x7E36151B
.long 0xD2A00019, 0x0002371A
.long 0xE0741000, 0x80041809
.long 0xD0CC0034, 0x00010042
.long 0xD1000014, 0x00D228F2
.long 0xD1000015, 0x00D22AF2
.long 0xD3B14020, 0x18024114
.long 0xD0CC0034, 0x00010042
.long 0xD1000016, 0x00D22CF2
.long 0xD1000017, 0x00D22EF2
.long 0xD3B14022, 0x18024516
.long 0xD3A00020, 0x14823C2D
.long 0xD3A01021, 0x14863C2D
.long 0xD3A00022, 0x148A3E2D
.long 0xD3A01023, 0x148E3E2D
.long 0xD3B24004, 0x18024110
.long 0xD3B24006, 0x18024512
.long 0xBEC81E3E
.long 0x7E400304
.long 0x7E420305
.long 0x7E440306
.long 0x7E460307
.long 0x7E401520
.long 0x7E421521
.long 0xD2A00020, 0x00024320
.long 0x7E441522
.long 0x7E461523
.long 0xD2A00021, 0x00024722
.long 0xE0741000, 0x8004200E
	;; [unrolled: 26-line block ×14, first 2 shown]
.long 0xBF800000
.long 0xBF820105
	;; [unrolled: 1-line block ×3, first 2 shown]
.long 0x260808FF, 0x7FFFFFFF
.long 0x260A0AFF, 0x7FFFFFFF
	;; [unrolled: 1-line block ×4, first 2 shown]
.long 0xBE801D48
.long 0xD044006A, 0x00007504
.long 0x1408083B
.long 0x00080880
.long 0xD044006A, 0x00007505
.long 0x140A0A3B
	;; [unrolled: 3-line block ×4, first 2 shown]
.long 0x000E0E80
.long 0xBE801D48
.long 0x0A1008FF, 0x3D372713
.long 0xD1CB0008, 0x03CA1104
.long 0x0A101104
.long 0x0A1010FF, 0x40135761
.long 0x7E104108
.long 0xBF800000
.long 0x021010F2
.long 0x7E104508
.long 0xBF800000
.long 0xD1CB0008, 0x03D210F5
.long 0x0A101104
.long 0x0A0810F0
.long 0x0A100AFF, 0x3D372713
.long 0xD1CB0008, 0x03CA1105
.long 0x0A101105
.long 0x0A1010FF, 0x40135761
.long 0x7E104108
.long 0xBF800000
.long 0x021010F2
.long 0x7E104508
.long 0xBF800000
.long 0xD1CB0008, 0x03D210F5
	;; [unrolled: 12-line block ×4, first 2 shown]
.long 0x0A101107
.long 0x0A0E10F0
	;; [unrolled: 1-line block ×4, first 2 shown]
.long 0xD046006A, 0x00010104
.long 0x00080908
.long 0x0A100A3A
.long 0xD046006A, 0x00010105
.long 0x000A0B08
.long 0x0A100C3A
	;; [unrolled: 3-line block ×4, first 2 shown]
.long 0xD10B0004, 0x00010104
.long 0xD10B0005, 0x00010105
.long 0xD10B0006, 0x00010106
.long 0xD10B0007, 0x00010107
.long 0xBE801D48
.long 0x0A0808FF, 0xBFB8AA3B
.long 0x7E084104
.long 0xBF800000
.long 0x020808F2
.long 0x7E084504
.long 0xBF800000
.long 0x0A0A0AFF, 0xBFB8AA3B
.long 0x7E0A4105
.long 0xBF800000
.long 0x020A0AF2
.long 0x7E0A4505
	;; [unrolled: 6-line block ×4, first 2 shown]
.long 0xBF800000
.long 0xBE801D48
	;; [unrolled: 1-line block ×3, first 2 shown]
.long 0x0A0808FF, 0x4038AA3B
.long 0x7E084104
.long 0xBF800000
.long 0x020808F2
.long 0x7E084504
.long 0xBF800000
.long 0xD1CB0004, 0x03CA08F5
.long 0x0A08083B
.long 0x0A0A0A3A
.long 0x0A0A0AFF, 0x4038AA3B
.long 0x7E0A4105
.long 0xBF800000
.long 0x020A0AF2
.long 0x7E0A4505
.long 0xBF800000
.long 0xD1CB0005, 0x03CA0AF5
.long 0x0A0A0A3B
.long 0x0A0C0C3A
	;; [unrolled: 9-line block ×4, first 2 shown]
.long 0x0A1008FF, 0x3D372713
.long 0xD1CB0008, 0x03CA1104
.long 0x0A101104
.long 0x0A1010FF, 0x40135761
.long 0x7E104108
.long 0xBF800000
.long 0x021010F2
.long 0x7E104508
.long 0xBF800000
.long 0xD1CB0008, 0x03D210F5
.long 0x0A101104
.long 0x0A1010F0
.long 0x0A08103A
.long 0x0A100AFF, 0x3D372713
.long 0xD1CB0008, 0x03CA1105
.long 0x0A101105
.long 0x0A1010FF, 0x40135761
.long 0x7E104108
.long 0xBF800000
.long 0x021010F2
.long 0x7E104508
.long 0xBF800000
.long 0xD1CB0008, 0x03D210F5
.long 0x0A101105
.long 0x0A1010F0
.long 0x0A0A103A
	;; [unrolled: 13-line block ×4, first 2 shown]
.long 0xBE801D48
.long 0xBF810000
